;; amdgpu-corpus repo=ROCm/rocFFT kind=compiled arch=gfx1030 opt=O3
	.text
	.amdgcn_target "amdgcn-amd-amdhsa--gfx1030"
	.amdhsa_code_object_version 6
	.protected	bluestein_single_back_len1456_dim1_dp_op_CI_CI ; -- Begin function bluestein_single_back_len1456_dim1_dp_op_CI_CI
	.globl	bluestein_single_back_len1456_dim1_dp_op_CI_CI
	.p2align	8
	.type	bluestein_single_back_len1456_dim1_dp_op_CI_CI,@function
bluestein_single_back_len1456_dim1_dp_op_CI_CI: ; @bluestein_single_back_len1456_dim1_dp_op_CI_CI
; %bb.0:
	v_mul_u32_u24_e32 v1, 0x169, v0
	s_mov_b64 s[50:51], s[2:3]
	s_mov_b64 s[48:49], s[0:1]
	s_load_dwordx4 s[0:3], s[4:5], 0x28
	s_add_u32 s48, s48, s7
	v_lshrrev_b32_e32 v1, 16, v1
	s_addc_u32 s49, s49, 0
	v_mov_b32_e32 v4, 0
	v_add_nc_u32_e32 v3, s6, v1
	v_mov_b32_e32 v2, v3
	buffer_store_dword v2, off, s[48:51], 0 offset:4 ; 4-byte Folded Spill
	buffer_store_dword v3, off, s[48:51], 0 offset:8 ; 4-byte Folded Spill
	s_waitcnt lgkmcnt(0)
	v_cmp_gt_u64_e32 vcc_lo, s[0:1], v[3:4]
	s_and_saveexec_b32 s0, vcc_lo
	s_cbranch_execz .LBB0_23
; %bb.1:
	v_mul_lo_u16 v1, 0xb6, v1
	s_clause 0x1
	s_load_dwordx2 s[14:15], s[4:5], 0x0
	s_load_dwordx2 s[12:13], s[4:5], 0x38
	v_sub_nc_u16 v0, v0, v1
	v_and_b32_e32 v1, 0xffff, v0
	v_cmp_gt_u16_e32 vcc_lo, 0x70, v0
	v_lshlrev_b32_e32 v255, 4, v1
	buffer_store_dword v1, off, s[48:51], 0 ; 4-byte Folded Spill
	s_and_saveexec_b32 s1, vcc_lo
	s_cbranch_execz .LBB0_3
; %bb.2:
	s_load_dwordx2 s[6:7], s[4:5], 0x18
	s_waitcnt lgkmcnt(0)
	v_add_co_u32 v18, s0, s14, v255
	v_add_co_ci_u32_e64 v19, null, s15, 0, s0
	v_add_co_u32 v8, s0, 0x800, v18
	v_add_co_ci_u32_e64 v9, s0, 0, v19, s0
	v_add_co_u32 v24, s0, 0x1000, v18
	v_add_co_ci_u32_e64 v25, s0, 0, v19, s0
	;; [unrolled: 2-line block ×3, first 2 shown]
	v_add_co_u32 v32, s0, 0x2000, v18
	s_load_dwordx4 s[8:11], s[6:7], 0x0
	s_clause 0x1
	global_load_dwordx4 v[0:3], v255, s[14:15]
	global_load_dwordx4 v[4:7], v255, s[14:15] offset:1792
	s_clause 0x2
	buffer_load_dword v16, off, s[48:51], 0
	buffer_load_dword v10, off, s[48:51], 0 offset:4
	buffer_load_dword v11, off, s[48:51], 0 offset:8
	v_add_co_ci_u32_e64 v33, s0, 0, v19, s0
	v_add_co_u32 v36, s0, 0x2800, v18
	v_add_co_ci_u32_e64 v37, s0, 0, v19, s0
	v_add_co_u32 v40, s0, 0x3000, v18
	;; [unrolled: 2-line block ×3, first 2 shown]
	v_add_co_ci_u32_e64 v45, s0, 0, v19, s0
	s_waitcnt lgkmcnt(0)
	s_mul_i32 s6, s9, 0x700
	s_mul_hi_u32 s7, s8, 0x700
	s_add_i32 s7, s7, s6
	s_waitcnt vmcnt(2)
	v_mad_u64_u32 v[12:13], null, s8, v16, 0
	s_waitcnt vmcnt(1)
	v_mov_b32_e32 v14, v10
	v_or_b32_e32 v21, 0x380, v16
	s_waitcnt vmcnt(0)
	v_mad_u64_u32 v[10:11], null, s10, v14, 0
	v_lshlrev_b32_e32 v20, 4, v21
	v_mad_u64_u32 v[14:15], null, s11, v14, v[11:12]
	v_mad_u64_u32 v[15:16], null, s9, v16, v[13:14]
	v_mov_b32_e32 v11, v14
	v_lshlrev_b64 v[10:11], 4, v[10:11]
	v_mov_b32_e32 v13, v15
	v_mad_u64_u32 v[14:15], null, s8, v21, 0
	v_lshlrev_b64 v[12:13], 4, v[12:13]
	v_add_co_u32 v16, s0, s2, v10
	v_add_co_ci_u32_e64 v17, s0, s3, v11, s0
	s_mul_i32 s2, s8, 0x700
	v_add_co_u32 v12, s0, v16, v12
	v_add_co_ci_u32_e64 v13, s0, v17, v13, s0
	v_mov_b32_e32 v10, v15
	v_add_co_u32 v52, s0, v12, s2
	v_add_co_ci_u32_e64 v53, s0, s7, v13, s0
	v_add_co_u32 v48, s0, 0x4000, v18
	v_add_co_ci_u32_e64 v49, s0, 0, v19, s0
	;; [unrolled: 2-line block ×3, first 2 shown]
	v_mad_u64_u32 v[10:11], null, s9, v21, v[10:11]
	v_add_co_u32 v60, s0, v56, s2
	v_add_co_ci_u32_e64 v61, s0, s7, v57, s0
	v_add_co_u32 v64, s0, v60, s2
	v_add_co_ci_u32_e64 v65, s0, s7, v61, s0
	;; [unrolled: 2-line block ×4, first 2 shown]
	v_mov_b32_e32 v15, v10
	v_add_co_u32 v72, s0, v68, s2
	v_add_co_ci_u32_e64 v73, s0, s7, v69, s0
	v_lshlrev_b64 v[10:11], 4, v[14:15]
	v_add_co_u32 v76, s0, v72, s2
	v_add_co_ci_u32_e64 v77, s0, s7, v73, s0
	v_add_co_u32 v16, s0, v16, v10
	v_mad_u64_u32 v[80:81], null, 0xe00, s8, v[76:77]
	v_add_co_ci_u32_e64 v17, s0, v17, v11, s0
	v_add_co_u32 v96, s0, 0x5000, v18
	v_add_co_ci_u32_e64 v97, s0, 0, v19, s0
	v_mov_b32_e32 v46, v81
	global_load_dwordx4 v[8:11], v[8:9], off offset:1536
	s_clause 0x1
	global_load_dwordx4 v[12:15], v[12:13], off
	global_load_dwordx4 v[16:19], v[16:17], off
	s_clause 0x2
	global_load_dwordx4 v[20:23], v20, s[14:15]
	global_load_dwordx4 v[24:27], v[24:25], off offset:1280
	global_load_dwordx4 v[28:31], v[28:29], off offset:1024
	v_add_co_u32 v84, s0, v80, s2
	s_clause 0x2
	global_load_dwordx4 v[32:35], v[32:33], off offset:768
	global_load_dwordx4 v[36:39], v[36:37], off offset:512
	;; [unrolled: 1-line block ×3, first 2 shown]
	v_mad_u64_u32 v[74:75], null, 0xe00, s9, v[46:47]
	s_clause 0x1
	global_load_dwordx4 v[44:47], v[44:45], off offset:1792
	global_load_dwordx4 v[48:51], v[48:49], off offset:1536
	s_clause 0x3
	global_load_dwordx4 v[52:55], v[52:53], off
	global_load_dwordx4 v[56:59], v[56:57], off
	;; [unrolled: 1-line block ×6, first 2 shown]
	v_mov_b32_e32 v81, v74
	global_load_dwordx4 v[72:75], v[72:73], off
	v_add_co_ci_u32_e64 v85, s0, s7, v81, s0
	v_add_co_u32 v92, s0, v84, s2
	global_load_dwordx4 v[80:83], v[80:81], off
	v_add_co_ci_u32_e64 v93, s0, s7, v85, s0
	v_add_co_u32 v100, s0, v92, s2
	v_add_co_ci_u32_e64 v101, s0, s7, v93, s0
	global_load_dwordx4 v[84:87], v[84:85], off
	global_load_dwordx4 v[88:91], v[88:89], off offset:1280
	global_load_dwordx4 v[92:95], v[92:93], off
	global_load_dwordx4 v[96:99], v[96:97], off offset:1024
	global_load_dwordx4 v[100:103], v[100:101], off
	s_waitcnt vmcnt(22)
	v_mul_f64 v[104:105], v[14:15], v[2:3]
	v_mul_f64 v[2:3], v[12:13], v[2:3]
	s_waitcnt vmcnt(20)
	v_mul_f64 v[106:107], v[18:19], v[22:23]
	v_mul_f64 v[22:23], v[16:17], v[22:23]
	;; [unrolled: 3-line block ×7, first 2 shown]
	v_fma_f64 v[10:11], v[12:13], v[0:1], v[104:105]
	v_mul_f64 v[104:105], v[70:71], v[34:35]
	v_mul_f64 v[34:35], v[68:69], v[34:35]
	v_fma_f64 v[12:13], v[14:15], v[0:1], -v[2:3]
	v_fma_f64 v[0:1], v[16:17], v[20:21], v[106:107]
	s_waitcnt vmcnt(6)
	v_mul_f64 v[106:107], v[74:75], v[38:39]
	v_mul_f64 v[38:39], v[72:73], v[38:39]
	s_waitcnt vmcnt(5)
	v_mul_f64 v[120:121], v[82:83], v[46:47]
	v_mul_f64 v[46:47], v[80:81], v[46:47]
	;; [unrolled: 3-line block ×5, first 2 shown]
	v_fma_f64 v[14:15], v[52:53], v[4:5], v[108:109]
	v_fma_f64 v[16:17], v[54:55], v[4:5], -v[6:7]
	v_fma_f64 v[4:5], v[56:57], v[8:9], v[110:111]
	v_fma_f64 v[6:7], v[58:59], v[8:9], -v[112:113]
	v_fma_f64 v[2:3], v[18:19], v[20:21], -v[22:23]
	v_fma_f64 v[18:19], v[60:61], v[24:25], v[114:115]
	v_fma_f64 v[20:21], v[62:63], v[24:25], -v[26:27]
	v_fma_f64 v[22:23], v[64:65], v[28:29], v[116:117]
	;; [unrolled: 2-line block ×4, first 2 shown]
	v_fma_f64 v[30:31], v[72:73], v[36:37], v[106:107]
	v_fma_f64 v[32:33], v[74:75], v[36:37], -v[38:39]
	v_fma_f64 v[36:37], v[78:79], v[40:41], -v[42:43]
	v_fma_f64 v[38:39], v[80:81], v[44:45], v[120:121]
	v_fma_f64 v[40:41], v[82:83], v[44:45], -v[46:47]
	v_fma_f64 v[42:43], v[84:85], v[48:49], v[122:123]
	v_fma_f64 v[44:45], v[86:87], v[48:49], -v[50:51]
	v_fma_f64 v[46:47], v[92:93], v[88:89], v[124:125]
	v_fma_f64 v[48:49], v[94:95], v[88:89], -v[90:91]
	v_fma_f64 v[50:51], v[100:101], v[96:97], v[126:127]
	v_fma_f64 v[52:53], v[102:103], v[96:97], -v[98:99]
	ds_write_b128 v255, v[10:13]
	ds_write_b128 v255, v[14:17] offset:1792
	ds_write_b128 v255, v[4:7] offset:3584
	;; [unrolled: 1-line block ×12, first 2 shown]
.LBB0_3:
	s_or_b32 exec_lo, exec_lo, s1
	s_clause 0x1
	s_load_dwordx2 s[0:1], s[4:5], 0x20
	s_load_dwordx2 s[2:3], s[4:5], 0x8
	s_waitcnt lgkmcnt(0)
	s_waitcnt_vscnt null, 0x0
	s_barrier
	buffer_gl0_inv
                                        ; implicit-def: $vgpr4_vgpr5
                                        ; implicit-def: $vgpr28_vgpr29
                                        ; implicit-def: $vgpr36_vgpr37
                                        ; implicit-def: $vgpr24_vgpr25
                                        ; implicit-def: $vgpr20_vgpr21
                                        ; implicit-def: $vgpr16_vgpr17
                                        ; implicit-def: $vgpr12_vgpr13
                                        ; implicit-def: $vgpr8_vgpr9
                                        ; implicit-def: $vgpr0_vgpr1
                                        ; implicit-def: $vgpr44_vgpr45
                                        ; implicit-def: $vgpr48_vgpr49
                                        ; implicit-def: $vgpr40_vgpr41
                                        ; implicit-def: $vgpr32_vgpr33
	s_and_saveexec_b32 s4, vcc_lo
	s_cbranch_execz .LBB0_5
; %bb.4:
	ds_read_b128 v[4:7], v255
	ds_read_b128 v[32:35], v255 offset:1792
	ds_read_b128 v[40:43], v255 offset:3584
	;; [unrolled: 1-line block ×12, first 2 shown]
.LBB0_5:
	s_or_b32 exec_lo, exec_lo, s4
	s_waitcnt lgkmcnt(0)
	v_add_f64 v[62:63], v[34:35], -v[2:3]
	s_mov_b32 s4, 0x4267c47c
	s_mov_b32 s5, 0xbfddbe06
	v_add_f64 v[92:93], v[32:33], -v[0:1]
	v_add_f64 v[60:61], v[0:1], v[32:33]
	v_add_f64 v[66:67], v[2:3], v[34:35]
	v_add_f64 v[52:53], v[42:43], -v[10:11]
	v_add_f64 v[58:59], v[40:41], -v[8:9]
	s_mov_b32 s10, 0xe00740e9
	s_mov_b32 s18, 0x42a4c3d2
	;; [unrolled: 1-line block ×6, first 2 shown]
	v_add_f64 v[54:55], v[8:9], v[40:41]
	v_add_f64 v[56:57], v[10:11], v[42:43]
	v_add_f64 v[64:65], v[30:31], -v[14:15]
	v_add_f64 v[94:95], v[28:29], -v[12:13]
	s_mov_b32 s8, 0x1ea71119
	s_mov_b32 s16, 0xebaa3ed8
	;; [unrolled: 1-line block ×4, first 2 shown]
	v_mul_f64 v[72:73], v[62:63], s[4:5]
	v_mul_f64 v[136:137], v[62:63], s[18:19]
	;; [unrolled: 1-line block ×8, first 2 shown]
	s_mov_b32 s9, 0x3fe22d96
	s_mov_b32 s17, 0x3fbedb7d
	s_mov_b32 s21, 0xbfedeba7
	s_mov_b32 s41, 0xbfcea1e5
	v_add_f64 v[68:69], v[28:29], v[12:13]
	v_add_f64 v[70:71], v[30:31], v[14:15]
	v_add_f64 v[112:113], v[36:37], -v[16:17]
	v_add_f64 v[98:99], v[38:39], -v[18:19]
	v_mul_f64 v[150:151], v[64:65], s[6:7]
	v_mul_f64 v[154:155], v[94:95], s[6:7]
	;; [unrolled: 1-line block ×6, first 2 shown]
	buffer_store_dword v72, off, s[48:51], 0 offset:12 ; 4-byte Folded Spill
	buffer_store_dword v73, off, s[48:51], 0 offset:16 ; 4-byte Folded Spill
	v_fma_f64 v[80:81], v[60:61], s[8:9], v[136:137]
	v_fma_f64 v[84:85], v[60:61], s[16:17], v[179:180]
	v_fma_f64 v[74:75], v[66:67], s[10:11], -v[122:123]
	v_fma_f64 v[82:83], v[66:67], s[8:9], -v[140:141]
	;; [unrolled: 1-line block ×3, first 2 shown]
	v_fma_f64 v[76:77], v[54:55], s[8:9], v[124:125]
	v_fma_f64 v[78:79], v[56:57], s[8:9], -v[126:127]
	s_mov_b32 s22, 0xb2365da1
	s_mov_b32 s30, 0x93053d00
	;; [unrolled: 1-line block ×6, first 2 shown]
	v_add_f64 v[102:103], v[36:37], v[16:17]
	v_add_f64 v[104:105], v[38:39], v[18:19]
	v_add_f64 v[96:97], v[50:51], -v[22:23]
	v_mul_f64 v[164:165], v[98:99], s[20:21]
	v_mul_f64 v[168:169], v[112:113], s[20:21]
	;; [unrolled: 1-line block ×4, first 2 shown]
	v_fma_f64 v[88:89], v[68:69], s[16:17], v[150:151]
	v_fma_f64 v[90:91], v[70:71], s[16:17], -v[154:155]
	v_fma_f64 v[132:133], v[54:55], s[22:23], v[138:139]
	v_mul_f64 v[144:145], v[64:65], s[38:39]
	v_add_f64 v[74:75], v[6:7], v[74:75]
	v_mul_f64 v[146:147], v[94:95], s[38:39]
	v_fma_f64 v[134:135], v[56:57], s[30:31], -v[130:131]
	v_add_f64 v[84:85], v[4:5], v[84:85]
	v_add_f64 v[86:87], v[6:7], v[86:87]
	v_mul_f64 v[229:230], v[62:63], s[20:21]
	v_mul_f64 v[231:232], v[92:93], s[20:21]
	s_mov_b32 s28, 0x24c2f84
	s_mov_b32 s29, 0xbfe5384d
	;; [unrolled: 1-line block ×6, first 2 shown]
	v_add_f64 v[118:119], v[48:49], -v[20:21]
	v_add_f64 v[100:101], v[20:21], v[48:49]
	v_mul_f64 v[177:178], v[96:97], s[28:29]
	v_mul_f64 v[156:157], v[98:99], s[34:35]
	;; [unrolled: 1-line block ×3, first 2 shown]
	v_fma_f64 v[160:161], v[102:103], s[22:23], v[164:165]
	v_fma_f64 v[162:163], v[104:105], s[22:23], -v[168:169]
	v_fma_f64 v[172:173], v[68:69], s[30:31], v[148:149]
	v_mul_f64 v[237:238], v[62:63], s[28:29]
	v_add_f64 v[74:75], v[78:79], v[74:75]
	v_add_f64 v[78:79], v[4:5], v[80:81]
	;; [unrolled: 1-line block ×3, first 2 shown]
	v_fma_f64 v[82:83], v[54:55], s[30:31], v[128:129]
	v_mul_f64 v[239:240], v[92:93], s[28:29]
	v_mul_f64 v[201:202], v[98:99], s[36:37]
	;; [unrolled: 1-line block ×5, first 2 shown]
	v_fma_f64 v[183:184], v[60:61], s[22:23], v[229:230]
	v_fma_f64 v[191:192], v[66:67], s[22:23], -v[231:232]
	s_mov_b32 s24, 0xd0032e0c
	s_mov_b32 s25, 0xbfe7f3cc
	s_mov_b32 s27, 0x3fefc445
	s_mov_b32 s26, s6
	v_add_f64 v[108:109], v[22:23], v[50:51]
	v_add_f64 v[110:111], v[44:45], -v[24:25]
	v_mul_f64 v[185:186], v[118:119], s[28:29]
	v_mul_f64 v[193:194], v[52:53], s[26:27]
	;; [unrolled: 1-line block ×5, first 2 shown]
	v_add_f64 v[74:75], v[90:91], v[74:75]
	v_add_f64 v[78:79], v[132:133], v[78:79]
	v_fma_f64 v[90:91], v[70:71], s[22:23], -v[146:147]
	v_add_f64 v[82:83], v[82:83], v[84:85]
	v_add_f64 v[84:85], v[134:135], v[86:87]
	v_fma_f64 v[86:87], v[100:101], s[24:25], v[177:178]
	v_fma_f64 v[134:135], v[102:103], s[24:25], v[156:157]
	v_mul_f64 v[189:190], v[64:65], s[36:37]
	v_fma_f64 v[199:200], v[102:103], s[10:11], v[201:202]
	v_fma_f64 v[205:206], v[104:105], s[10:11], -v[203:204]
	v_fma_f64 v[207:208], v[56:57], s[24:25], -v[181:182]
	v_add_f64 v[183:184], v[4:5], v[183:184]
	v_add_f64 v[191:192], v[6:7], v[191:192]
	v_mul_f64 v[197:198], v[94:95], s[36:37]
	v_add_f64 v[116:117], v[26:27], v[46:47]
	v_mul_f64 v[215:216], v[96:97], s[26:27]
	v_mul_f64 v[175:176], v[110:111], s[40:41]
	v_fma_f64 v[132:133], v[108:109], s[24:25], -v[185:186]
	v_mul_f64 v[209:210], v[64:65], s[18:19]
	v_mul_f64 v[211:212], v[94:95], s[18:19]
	s_mov_b32 s45, 0x3fcea1e5
	v_fma_f64 v[241:242], v[108:109], s[8:9], -v[221:222]
	v_add_f64 v[74:75], v[162:163], v[74:75]
	v_add_f64 v[78:79], v[172:173], v[78:79]
	v_fma_f64 v[162:163], v[66:67], s[24:25], -v[239:240]
	s_mov_b32 s44, s40
	v_add_f64 v[114:115], v[46:47], -v[26:27]
	v_mul_f64 v[213:214], v[98:99], s[44:45]
	s_mov_b32 s43, 0x3fea55e2
	s_mov_b32 s42, s18
	v_add_f64 v[106:107], v[24:25], v[44:45]
	v_mul_f64 v[225:226], v[118:119], s[26:27]
	v_mul_f64 v[235:236], v[110:111], s[36:37]
	;; [unrolled: 1-line block ×3, first 2 shown]
	v_fma_f64 v[243:244], v[70:71], s[10:11], -v[197:198]
	v_fma_f64 v[223:224], v[100:101], s[16:17], v[215:216]
	v_add_f64 v[74:75], v[132:133], v[74:75]
	v_add_f64 v[78:79], v[134:135], v[78:79]
	v_mul_f64 v[134:135], v[110:111], s[28:29]
	v_mul_f64 v[170:171], v[114:115], s[40:41]
	;; [unrolled: 1-line block ×4, first 2 shown]
	v_fma_f64 v[227:228], v[108:109], s[16:17], -v[225:226]
	v_fma_f64 v[247:248], v[116:117], s[10:11], -v[235:236]
	v_add_f64 v[78:79], v[223:224], v[78:79]
	v_fma_f64 v[253:254], v[116:117], s[24:25], -v[134:135]
	v_mul_f64 v[223:224], v[96:97], s[36:37]
	v_fma_f64 v[172:173], v[106:107], s[30:31], v[170:171]
	v_fma_f64 v[251:252], v[106:107], s[24:25], v[132:133]
	;; [unrolled: 1-line block ×3, first 2 shown]
	v_add_f64 v[72:73], v[4:5], v[72:73]
	v_add_f64 v[72:73], v[76:77], v[72:73]
	v_fma_f64 v[76:77], v[56:57], s[22:23], -v[142:143]
	v_add_f64 v[72:73], v[88:89], v[72:73]
	v_fma_f64 v[88:89], v[70:71], s[30:31], -v[152:153]
	v_add_f64 v[76:77], v[76:77], v[80:81]
	v_fma_f64 v[80:81], v[68:69], s[22:23], v[144:145]
	v_add_f64 v[72:73], v[160:161], v[72:73]
	v_fma_f64 v[160:161], v[104:105], s[24:25], -v[158:159]
	v_add_f64 v[76:77], v[88:89], v[76:77]
	v_fma_f64 v[88:89], v[60:61], s[24:25], v[237:238]
	v_add_f64 v[80:81], v[80:81], v[82:83]
	v_add_f64 v[82:83], v[90:91], v[84:85]
	v_fma_f64 v[90:91], v[54:55], s[24:25], v[166:167]
	v_fma_f64 v[84:85], v[116:117], s[30:31], -v[175:176]
	v_add_f64 v[72:73], v[86:87], v[72:73]
	v_add_f64 v[76:77], v[160:161], v[76:77]
	;; [unrolled: 1-line block ×3, first 2 shown]
	v_fma_f64 v[88:89], v[54:55], s[16:17], v[193:194]
	v_add_f64 v[160:161], v[6:7], v[162:163]
	v_fma_f64 v[162:163], v[56:57], s[16:17], -v[195:196]
	v_add_f64 v[80:81], v[199:200], v[80:81]
	v_add_f64 v[82:83], v[205:206], v[82:83]
	v_fma_f64 v[205:206], v[100:101], s[8:9], v[217:218]
	v_add_f64 v[90:91], v[90:91], v[183:184]
	v_add_f64 v[183:184], v[207:208], v[191:192]
	v_fma_f64 v[191:192], v[68:69], s[10:11], v[189:190]
	v_mul_f64 v[199:200], v[98:99], s[6:7]
	v_mul_f64 v[207:208], v[112:113], s[6:7]
	v_add_f64 v[245:246], v[227:228], v[76:77]
	v_fma_f64 v[76:77], v[106:107], s[10:11], v[233:234]
	v_add_f64 v[86:87], v[88:89], v[86:87]
	v_mul_f64 v[227:228], v[118:119], s[36:37]
	v_add_f64 v[88:89], v[162:163], v[160:161]
	v_fma_f64 v[160:161], v[68:69], s[8:9], v[209:210]
	v_fma_f64 v[162:163], v[70:71], s[8:9], -v[211:212]
	v_add_f64 v[249:250], v[205:206], v[80:81]
	v_add_f64 v[241:242], v[241:242], v[82:83]
	;; [unrolled: 1-line block ×4, first 2 shown]
	v_fma_f64 v[243:244], v[102:103], s[16:17], v[199:200]
	v_fma_f64 v[120:121], v[104:105], s[16:17], -v[207:208]
	v_mul_f64 v[191:192], v[96:97], s[44:45]
	v_mul_f64 v[205:206], v[118:119], s[44:45]
	v_add_f64 v[82:83], v[84:85], v[74:75]
	v_add_f64 v[80:81], v[172:173], v[72:73]
	v_fma_f64 v[172:173], v[104:105], s[30:31], -v[219:220]
	v_add_f64 v[76:77], v[76:77], v[78:79]
	v_add_f64 v[78:79], v[247:248], v[245:246]
	v_fma_f64 v[245:246], v[108:109], s[10:11], -v[227:228]
	v_add_f64 v[84:85], v[160:161], v[86:87]
	v_add_f64 v[86:87], v[162:163], v[88:89]
	v_fma_f64 v[88:89], v[102:103], s[30:31], v[213:214]
	v_add_f64 v[74:75], v[253:254], v[241:242]
	v_mul_f64 v[160:161], v[114:115], s[42:43]
	v_mul_f64 v[162:163], v[110:111], s[42:43]
	v_add_f64 v[90:91], v[243:244], v[90:91]
	v_add_f64 v[120:121], v[120:121], v[183:184]
	v_fma_f64 v[241:242], v[100:101], s[30:31], v[191:192]
	v_fma_f64 v[243:244], v[108:109], s[30:31], -v[205:206]
	v_mul_f64 v[183:184], v[110:111], s[20:21]
	v_add_f64 v[72:73], v[251:252], v[249:250]
	v_add_f64 v[86:87], v[172:173], v[86:87]
	;; [unrolled: 1-line block ×3, first 2 shown]
	v_fma_f64 v[88:89], v[100:101], s[10:11], v[223:224]
	v_mul_f64 v[173:174], v[114:115], s[20:21]
	v_add_f64 v[90:91], v[241:242], v[90:91]
	v_add_f64 v[120:121], v[243:244], v[120:121]
	v_fma_f64 v[241:242], v[106:107], s[8:9], v[160:161]
	v_fma_f64 v[243:244], v[116:117], s[8:9], -v[162:163]
	v_fma_f64 v[247:248], v[116:117], s[22:23], -v[183:184]
	v_add_f64 v[86:87], v[245:246], v[86:87]
	v_add_f64 v[84:85], v[88:89], v[84:85]
	v_fma_f64 v[245:246], v[106:107], s[22:23], v[173:174]
	v_add_f64 v[88:89], v[241:242], v[90:91]
	v_add_f64 v[90:91], v[243:244], v[120:121]
	buffer_load_dword v120, off, s[48:51], 0 ; 4-byte Folded Reload
	v_add_f64 v[86:87], v[247:248], v[86:87]
	v_add_f64 v[84:85], v[245:246], v[84:85]
	s_waitcnt vmcnt(0)
	v_mul_lo_u16 v120, v120, 13
	buffer_store_dword v120, off, s[48:51], 0 offset:28 ; 4-byte Folded Spill
	s_waitcnt_vscnt null, 0x0
	s_barrier
	buffer_gl0_inv
	s_and_saveexec_b32 s33, vcc_lo
	s_cbranch_execz .LBB0_7
; %bb.6:
	v_add_f64 v[32:33], v[4:5], v[32:33]
	v_add_f64 v[34:35], v[6:7], v[34:35]
	v_mul_f64 v[52:53], v[52:53], s[36:37]
	v_mul_f64 v[64:65], v[64:65], s[28:29]
	;; [unrolled: 1-line block ×4, first 2 shown]
	v_add_f64 v[32:33], v[40:41], v[32:33]
	v_add_f64 v[34:35], v[42:43], v[34:35]
	v_mul_f64 v[42:43], v[60:61], s[10:11]
	v_add_f64 v[120:121], v[152:153], v[120:121]
	v_mul_f64 v[152:153], v[108:109], s[8:9]
	v_add_f64 v[28:29], v[28:29], v[32:33]
	v_add_f64 v[30:31], v[30:31], v[34:35]
	v_mul_f64 v[32:33], v[66:67], s[8:9]
	v_mul_f64 v[34:35], v[60:61], s[8:9]
	v_add_f64 v[152:153], v[221:222], v[152:153]
	v_add_f64 v[28:29], v[36:37], v[28:29]
	;; [unrolled: 1-line block ×3, first 2 shown]
	v_mul_f64 v[38:39], v[62:63], s[40:41]
	v_add_f64 v[32:33], v[140:141], v[32:33]
	v_add_f64 v[34:35], v[34:35], -v[136:137]
	v_mul_f64 v[36:37], v[66:67], s[10:11]
	v_mul_f64 v[62:63], v[106:107], s[30:31]
	;; [unrolled: 1-line block ×4, first 2 shown]
	v_add_f64 v[28:29], v[48:49], v[28:29]
	v_add_f64 v[30:31], v[50:51], v[30:31]
	v_fma_f64 v[40:41], v[60:61], s[30:31], v[38:39]
	v_fma_f64 v[38:39], v[60:61], s[30:31], -v[38:39]
	v_add_f64 v[32:33], v[6:7], v[32:33]
	v_add_f64 v[36:37], v[122:123], v[36:37]
	;; [unrolled: 1-line block ×3, first 2 shown]
	v_mul_f64 v[122:123], v[68:69], s[30:31]
	v_add_f64 v[62:63], v[62:63], -v[170:171]
	v_mul_f64 v[50:51], v[100:101], s[24:25]
	v_mul_f64 v[48:49], v[108:109], s[24:25]
	v_add_f64 v[136:137], v[225:226], v[136:137]
	v_add_f64 v[140:141], v[235:236], v[140:141]
	v_add_f64 v[28:29], v[44:45], v[28:29]
	s_clause 0x1
	buffer_load_dword v44, off, s[48:51], 0 offset:12
	buffer_load_dword v45, off, s[48:51], 0 offset:16
	v_add_f64 v[30:31], v[46:47], v[30:31]
	v_add_f64 v[40:41], v[4:5], v[40:41]
	;; [unrolled: 1-line block ×3, first 2 shown]
	v_mul_f64 v[46:47], v[102:103], s[22:23]
	v_add_f64 v[122:123], v[122:123], -v[148:149]
	v_mul_f64 v[148:149], v[56:57], s[30:31]
	v_add_f64 v[50:51], v[50:51], -v[177:178]
	v_mul_f64 v[177:178], v[68:69], s[8:9]
	v_add_f64 v[48:49], v[185:186], v[48:49]
	v_mul_f64 v[185:186], v[104:105], s[30:31]
	v_add_f64 v[24:25], v[24:25], v[28:29]
	;; [unrolled: 2-line block ×3, first 2 shown]
	v_mul_f64 v[30:31], v[60:61], s[16:17]
	v_add_f64 v[46:47], v[46:47], -v[164:165]
	v_add_f64 v[130:131], v[130:131], v[148:149]
	v_mul_f64 v[148:149], v[54:55], s[30:31]
	v_add_f64 v[177:178], v[177:178], -v[209:210]
	v_add_f64 v[185:186], v[219:220], v[185:186]
	v_add_f64 v[20:21], v[20:21], v[24:25]
	v_mul_f64 v[24:25], v[66:67], s[22:23]
	v_add_f64 v[22:23], v[22:23], v[26:27]
	v_mul_f64 v[26:27], v[60:61], s[22:23]
	v_add_f64 v[30:31], v[30:31], -v[179:180]
	v_add_f64 v[28:29], v[187:188], v[28:29]
	v_mul_f64 v[179:180], v[54:55], s[16:17]
	v_mul_f64 v[187:188], v[102:103], s[30:31]
	v_add_f64 v[128:129], v[148:149], -v[128:129]
	v_mul_f64 v[148:149], v[70:71], s[22:23]
	v_add_f64 v[16:17], v[16:17], v[20:21]
	v_mul_f64 v[20:21], v[66:67], s[24:25]
	v_add_f64 v[18:19], v[18:19], v[22:23]
	v_mul_f64 v[22:23], v[60:61], s[24:25]
	v_add_f64 v[26:27], v[26:27], -v[229:230]
	v_add_f64 v[30:31], v[4:5], v[30:31]
	v_add_f64 v[24:25], v[231:232], v[24:25]
	;; [unrolled: 1-line block ×3, first 2 shown]
	v_mul_f64 v[60:61], v[116:117], s[30:31]
	v_add_f64 v[179:180], v[179:180], -v[193:194]
	v_add_f64 v[146:147], v[146:147], v[148:149]
	v_mul_f64 v[148:149], v[68:69], s[22:23]
	v_add_f64 v[187:188], v[187:188], -v[213:214]
	v_mul_f64 v[193:194], v[108:109], s[10:11]
	v_add_f64 v[12:13], v[12:13], v[16:17]
	v_mul_f64 v[16:17], v[66:67], s[30:31]
	v_add_f64 v[14:15], v[14:15], v[18:19]
	v_add_f64 v[22:23], v[22:23], -v[237:238]
	v_mul_f64 v[66:67], v[56:57], s[22:23]
	v_add_f64 v[26:27], v[4:5], v[26:27]
	v_add_f64 v[20:21], v[239:240], v[20:21]
	;; [unrolled: 1-line block ×4, first 2 shown]
	v_mul_f64 v[175:176], v[70:71], s[8:9]
	v_add_f64 v[28:29], v[130:131], v[28:29]
	v_add_f64 v[144:145], v[148:149], -v[144:145]
	v_mul_f64 v[148:149], v[104:105], s[10:11]
	v_add_f64 v[30:31], v[128:129], v[30:31]
	v_add_f64 v[193:194], v[227:228], v[193:194]
	;; [unrolled: 1-line block ×3, first 2 shown]
	v_fma_f64 v[18:19], v[92:93], s[44:45], v[16:17]
	v_fma_f64 v[16:17], v[92:93], s[40:41], v[16:17]
	v_add_f64 v[10:11], v[10:11], v[14:15]
	v_mul_f64 v[14:15], v[54:55], s[8:9]
	v_mul_f64 v[92:93], v[54:55], s[22:23]
	v_add_f64 v[22:23], v[4:5], v[22:23]
	v_mul_f64 v[12:13], v[56:57], s[8:9]
	v_add_f64 v[66:67], v[142:143], v[66:67]
	;; [unrolled: 2-line block ×3, first 2 shown]
	v_add_f64 v[175:176], v[211:212], v[175:176]
	v_add_f64 v[148:149], v[203:204], v[148:149]
	;; [unrolled: 1-line block ×8, first 2 shown]
	v_add_f64 v[14:15], v[14:15], -v[124:125]
	v_add_f64 v[92:93], v[92:93], -v[138:139]
	v_mul_f64 v[138:139], v[100:101], s[16:17]
	v_add_f64 v[12:13], v[126:127], v[12:13]
	v_mul_f64 v[126:127], v[102:103], s[24:25]
	v_add_f64 v[142:143], v[142:143], -v[233:234]
	v_mul_f64 v[124:125], v[104:105], s[24:25]
	v_mul_f64 v[36:37], v[70:71], s[16:17]
	v_add_f64 v[22:23], v[179:180], v[22:23]
	v_add_f64 v[28:29], v[148:149], v[28:29]
	;; [unrolled: 1-line block ×3, first 2 shown]
	v_add_f64 v[138:139], v[138:139], -v[215:216]
	v_add_f64 v[6:7], v[12:13], v[6:7]
	v_add_f64 v[126:127], v[126:127], -v[156:157]
	v_mul_f64 v[156:157], v[56:57], s[10:11]
	v_add_f64 v[124:125], v[158:159], v[124:125]
	v_add_f64 v[36:37], v[154:155], v[36:37]
	v_mul_f64 v[154:155], v[100:101], s[8:9]
	v_mul_f64 v[12:13], v[100:101], s[10:11]
	v_add_f64 v[22:23], v[177:178], v[22:23]
	v_add_f64 v[28:29], v[152:153], v[28:29]
	v_fma_f64 v[158:159], v[58:59], s[4:5], v[156:157]
	v_fma_f64 v[58:59], v[58:59], s[36:37], v[156:157]
	v_mul_f64 v[156:157], v[70:71], s[24:25]
	v_mul_f64 v[70:71], v[70:71], s[10:11]
	v_add_f64 v[6:7], v[36:37], v[6:7]
	v_mul_f64 v[36:37], v[108:109], s[30:31]
	v_add_f64 v[154:155], v[154:155], -v[217:218]
	v_add_f64 v[12:13], v[12:13], -v[223:224]
	v_add_f64 v[22:23], v[187:188], v[22:23]
	v_add_f64 v[18:19], v[158:159], v[18:19]
	;; [unrolled: 1-line block ×3, first 2 shown]
	v_fma_f64 v[164:165], v[94:95], s[34:35], v[156:157]
	v_fma_f64 v[94:95], v[94:95], s[28:29], v[156:157]
	v_mul_f64 v[156:157], v[104:105], s[8:9]
	v_add_f64 v[70:71], v[197:198], v[70:71]
	v_add_f64 v[36:37], v[205:206], v[36:37]
	v_mul_f64 v[58:59], v[114:115], s[26:27]
	v_add_f64 v[18:19], v[164:165], v[18:19]
	v_add_f64 v[16:17], v[94:95], v[16:17]
	s_waitcnt vmcnt(0)
	v_add_f64 v[42:43], v[42:43], -v[44:45]
	v_mul_f64 v[44:45], v[104:105], s[22:23]
	v_mul_f64 v[104:105], v[104:105], s[16:17]
	v_add_f64 v[4:5], v[4:5], v[42:43]
	v_add_f64 v[44:45], v[168:169], v[44:45]
	v_fma_f64 v[168:169], v[112:113], s[18:19], v[156:157]
	v_fma_f64 v[112:113], v[112:113], s[42:43], v[156:157]
	v_mul_f64 v[156:157], v[108:109], s[22:23]
	v_mul_f64 v[42:43], v[68:69], s[16:17]
	v_add_f64 v[104:105], v[207:208], v[104:105]
	v_add_f64 v[4:5], v[14:15], v[4:5]
	;; [unrolled: 1-line block ×5, first 2 shown]
	v_fma_f64 v[170:171], v[118:119], s[38:39], v[156:157]
	v_fma_f64 v[118:119], v[118:119], s[20:21], v[156:157]
	v_mul_f64 v[156:157], v[56:57], s[16:17]
	v_mul_f64 v[56:57], v[56:57], s[24:25]
	v_add_f64 v[42:43], v[42:43], -v[150:151]
	v_mul_f64 v[150:151], v[102:103], s[10:11]
	v_mul_f64 v[44:45], v[100:101], s[30:31]
	v_add_f64 v[16:17], v[112:113], v[16:17]
	v_add_f64 v[18:19], v[168:169], v[18:19]
	;; [unrolled: 1-line block ×5, first 2 shown]
	v_mul_f64 v[48:49], v[116:117], s[22:23]
	v_add_f64 v[156:157], v[195:196], v[156:157]
	v_add_f64 v[56:57], v[181:182], v[56:57]
	v_fma_f64 v[181:182], v[54:55], s[10:11], v[52:53]
	v_fma_f64 v[52:53], v[54:55], s[10:11], -v[52:53]
	v_mul_f64 v[54:55], v[54:55], s[24:25]
	v_add_f64 v[4:5], v[42:43], v[4:5]
	v_add_f64 v[150:151], v[150:151], -v[201:202]
	v_add_f64 v[44:45], v[44:45], -v[191:192]
	v_add_f64 v[16:17], v[118:119], v[16:17]
	v_add_f64 v[18:19], v[170:171], v[18:19]
	;; [unrolled: 1-line block ×8, first 2 shown]
	v_mul_f64 v[56:57], v[116:117], s[8:9]
	v_add_f64 v[34:35], v[52:53], v[38:39]
	v_add_f64 v[54:55], v[54:55], -v[166:167]
	v_fma_f64 v[166:167], v[68:69], s[24:25], v[64:65]
	v_fma_f64 v[64:65], v[68:69], s[24:25], -v[64:65]
	v_mul_f64 v[68:69], v[68:69], s[10:11]
	v_add_f64 v[38:39], v[181:182], v[40:41]
	v_add_f64 v[4:5], v[46:47], v[4:5]
	v_mul_f64 v[40:41], v[96:97], s[20:21]
	v_add_f64 v[30:31], v[150:151], v[30:31]
	v_mul_f64 v[46:47], v[116:117], s[24:25]
	v_mul_f64 v[52:53], v[106:107], s[24:25]
	v_add_f64 v[14:15], v[136:137], v[14:15]
	v_add_f64 v[32:33], v[138:139], v[32:33]
	;; [unrolled: 1-line block ×6, first 2 shown]
	v_mul_f64 v[54:55], v[116:117], s[16:17]
	v_add_f64 v[34:35], v[64:65], v[34:35]
	v_add_f64 v[68:69], v[68:69], -v[189:190]
	v_fma_f64 v[189:190], v[102:103], s[8:9], v[98:99]
	v_fma_f64 v[98:99], v[102:103], s[8:9], -v[98:99]
	v_mul_f64 v[102:103], v[102:103], s[16:17]
	v_add_f64 v[38:39], v[166:167], v[38:39]
	v_mul_f64 v[64:65], v[106:107], s[8:9]
	v_add_f64 v[4:5], v[50:51], v[4:5]
	v_mul_f64 v[50:51], v[106:107], s[22:23]
	v_fma_f64 v[42:43], v[100:101], s[22:23], v[40:41]
	v_fma_f64 v[40:41], v[100:101], s[22:23], -v[40:41]
	v_add_f64 v[46:47], v[134:135], v[46:47]
	v_add_f64 v[8:9], v[142:143], v[32:33]
	buffer_load_dword v33, off, s[48:51], 0 offset:28 ; 4-byte Folded Reload
	v_add_f64 v[52:53], v[52:53], -v[132:133]
	v_add_f64 v[30:31], v[154:155], v[30:31]
	v_add_f64 v[20:21], v[185:186], v[20:21]
	;; [unrolled: 1-line block ×4, first 2 shown]
	v_mov_b32_e32 v32, 4
	v_fma_f64 v[66:67], v[110:111], s[6:7], v[54:55]
	v_fma_f64 v[54:55], v[110:111], s[26:27], v[54:55]
	v_add_f64 v[26:27], v[68:69], v[26:27]
	v_add_f64 v[68:69], v[12:13], v[22:23]
	;; [unrolled: 1-line block ×3, first 2 shown]
	v_add_f64 v[102:103], v[102:103], -v[199:200]
	v_add_f64 v[38:39], v[189:190], v[38:39]
	v_add_f64 v[64:65], v[64:65], -v[160:161]
	v_add_f64 v[4:5], v[62:63], v[4:5]
	;; [unrolled: 2-line block ×3, first 2 shown]
	v_add_f64 v[12:13], v[52:53], v[30:31]
	v_add_f64 v[20:21], v[193:194], v[20:21]
	;; [unrolled: 1-line block ×3, first 2 shown]
	v_fma_f64 v[36:37], v[106:107], s[16:17], v[58:59]
	v_fma_f64 v[58:59], v[106:107], s[16:17], -v[58:59]
	v_add_f64 v[18:19], v[66:67], v[18:19]
	v_add_f64 v[22:23], v[54:55], v[16:17]
	;; [unrolled: 1-line block ×12, first 2 shown]
	s_waitcnt vmcnt(0)
	v_lshlrev_b32_sdwa v32, v32, v33 dst_sel:DWORD dst_unused:UNUSED_PAD src0_sel:DWORD src1_sel:WORD_0
	ds_write_b128 v32, v[0:3]
	ds_write_b128 v32, v[4:7] offset:16
	ds_write_b128 v32, v[8:11] offset:32
	;; [unrolled: 1-line block ×12, first 2 shown]
.LBB0_7:
	s_or_b32 exec_lo, exec_lo, s33
	buffer_load_dword v124, off, s[48:51], 0 ; 4-byte Folded Reload
	v_mov_b32_e32 v2, 0x4ec5
	s_load_dwordx4 s[4:7], s[0:1], 0x0
	s_waitcnt vmcnt(0) lgkmcnt(0)
	s_barrier
	buffer_gl0_inv
	v_add_nc_u16 v1, v124, 0xb6
	v_and_b32_e32 v0, 0xff, v124
	v_mul_u32_u24_sdwa v2, v1, v2 dst_sel:DWORD dst_unused:UNUSED_PAD src0_sel:WORD_0 src1_sel:DWORD
	v_mul_lo_u16 v0, 0x4f, v0
	v_lshrrev_b32_e32 v104, 18, v2
	v_lshrrev_b16 v23, 10, v0
	v_mul_lo_u16 v4, v104, 13
	v_mul_lo_u16 v3, v23, 13
	v_sub_nc_u16 v105, v1, v4
	v_sub_nc_u16 v3, v124, v3
	v_mul_lo_u16 v5, v105, 48
	v_and_b32_e32 v106, 0xff, v3
	v_and_b32_e32 v5, 0xffff, v5
	v_mad_u64_u32 v[3:4], null, v106, 48, s[2:3]
	v_add_co_u32 v5, s0, s2, v5
	v_add_co_ci_u32_e64 v6, null, s3, 0, s0
	s_clause 0x5
	global_load_dwordx4 v[28:31], v[3:4], off
	global_load_dwordx4 v[32:35], v[3:4], off offset:16
	global_load_dwordx4 v[24:27], v[3:4], off offset:32
	global_load_dwordx4 v[44:47], v[5:6], off
	global_load_dwordx4 v[40:43], v[5:6], off offset:16
	global_load_dwordx4 v[36:39], v[5:6], off offset:32
	ds_read_b128 v[3:6], v255 offset:5824
	ds_read_b128 v[7:10], v255 offset:11648
	;; [unrolled: 1-line block ×6, first 2 shown]
	ds_read_b128 v[52:55], v255
	ds_read_b128 v[56:59], v255 offset:2912
	s_waitcnt vmcnt(0) lgkmcnt(0)
	s_barrier
	buffer_gl0_inv
	v_cmp_gt_u16_e64 s0, 26, v124
                                        ; implicit-def: $vgpr124_vgpr125
	v_mul_f64 v[64:65], v[9:10], v[34:35]
	v_mul_f64 v[66:67], v[7:8], v[34:35]
	;; [unrolled: 1-line block ×12, first 2 shown]
	v_fma_f64 v[7:8], v[7:8], v[32:33], -v[64:65]
	v_fma_f64 v[9:10], v[9:10], v[32:33], v[66:67]
	v_fma_f64 v[11:12], v[11:12], v[24:25], -v[68:69]
	v_fma_f64 v[3:4], v[3:4], v[28:29], -v[60:61]
	v_fma_f64 v[5:6], v[5:6], v[28:29], v[62:63]
	v_fma_f64 v[13:14], v[13:14], v[24:25], v[70:71]
	v_fma_f64 v[15:16], v[15:16], v[44:45], -v[92:93]
	v_fma_f64 v[17:18], v[17:18], v[44:45], v[94:95]
	v_fma_f64 v[19:20], v[19:20], v[40:41], -v[96:97]
	;; [unrolled: 2-line block ×3, first 2 shown]
	v_fma_f64 v[50:51], v[50:51], v[36:37], v[102:103]
	v_add_f64 v[60:61], v[52:53], -v[7:8]
	v_add_f64 v[62:63], v[54:55], -v[9:10]
	v_add_f64 v[7:8], v[3:4], -v[11:12]
	v_add_f64 v[9:10], v[5:6], -v[13:14]
	v_add_f64 v[19:20], v[56:57], -v[19:20]
	v_add_f64 v[21:22], v[58:59], -v[21:22]
	v_add_f64 v[11:12], v[15:16], -v[48:49]
	v_add_f64 v[13:14], v[17:18], -v[50:51]
	v_fma_f64 v[48:49], v[52:53], 2.0, -v[60:61]
	v_fma_f64 v[50:51], v[54:55], 2.0, -v[62:63]
	;; [unrolled: 1-line block ×4, first 2 shown]
	v_add_f64 v[3:4], v[60:61], -v[9:10]
	v_add_f64 v[5:6], v[62:63], v[7:8]
	v_fma_f64 v[56:57], v[56:57], 2.0, -v[19:20]
	v_fma_f64 v[58:59], v[58:59], 2.0, -v[21:22]
	;; [unrolled: 1-line block ×4, first 2 shown]
	v_add_f64 v[92:93], v[19:20], -v[13:14]
	v_add_f64 v[94:95], v[21:22], v[11:12]
	v_add_f64 v[7:8], v[48:49], -v[52:53]
	v_add_f64 v[9:10], v[50:51], -v[54:55]
	;; [unrolled: 1-line block ×4, first 2 shown]
	v_fma_f64 v[15:16], v[60:61], 2.0, -v[3:4]
	v_fma_f64 v[17:18], v[62:63], 2.0, -v[5:6]
	;; [unrolled: 1-line block ×4, first 2 shown]
	v_mov_b32_e32 v60, 52
	v_mul_u32_u24_sdwa v23, v23, v60 dst_sel:DWORD dst_unused:UNUSED_PAD src0_sel:WORD_0 src1_sel:DWORD
	v_fma_f64 v[48:49], v[48:49], 2.0, -v[7:8]
	v_fma_f64 v[50:51], v[50:51], 2.0, -v[9:10]
	;; [unrolled: 1-line block ×4, first 2 shown]
	v_mov_b32_e32 v56, 4
	v_mad_u16 v57, v104, 52, v105
	v_add_lshl_u32 v58, v23, v106, 4
	ds_write_b128 v58, v[3:6] offset:624
	ds_write_b128 v58, v[15:18] offset:208
	;; [unrolled: 1-line block ×3, first 2 shown]
	v_lshlrev_b32_sdwa v23, v56, v57 dst_sel:DWORD dst_unused:UNUSED_PAD src0_sel:DWORD src1_sel:WORD_0
	buffer_store_dword v58, off, s[48:51], 0 offset:40 ; 4-byte Folded Spill
	ds_write_b128 v58, v[48:51]
	ds_write_b128 v23, v[19:22] offset:208
	ds_write_b128 v23, v[11:14] offset:416
	;; [unrolled: 1-line block ×3, first 2 shown]
	buffer_store_dword v23, off, s[48:51], 0 offset:36 ; 4-byte Folded Spill
	ds_write_b128 v23, v[52:55]
	s_waitcnt lgkmcnt(0)
	s_waitcnt_vscnt null, 0x0
	s_barrier
	buffer_gl0_inv
	ds_read_b128 v[96:99], v255
	ds_read_b128 v[116:119], v255 offset:3328
	ds_read_b128 v[112:115], v255 offset:6656
	;; [unrolled: 1-line block ×6, first 2 shown]
	s_and_saveexec_b32 s1, s0
	s_cbranch_execz .LBB0_9
; %bb.8:
	ds_read_b128 v[92:95], v255 offset:2912
	ds_read_b128 v[84:87], v255 offset:6240
	;; [unrolled: 1-line block ×7, first 2 shown]
.LBB0_9:
	s_or_b32 exec_lo, exec_lo, s1
	buffer_load_dword v4, off, s[48:51], 0  ; 4-byte Folded Reload
	v_lshrrev_b16 v0, 12, v0
	v_lshrrev_b32_e32 v2, 20, v2
	s_mov_b32 s8, 0x36b3c0b5
	s_mov_b32 s9, 0x3fac98ee
	;; [unrolled: 1-line block ×3, first 2 shown]
	v_mul_lo_u16 v3, v0, 52
	v_mul_lo_u16 v2, v2, 52
	s_mov_b32 s26, 0xe976ee23
	s_mov_b32 s10, 0x429ad128
	;; [unrolled: 1-line block ×17, first 2 shown]
	s_waitcnt vmcnt(0)
	v_sub_nc_u16 v3, v4, v3
	v_and_b32_e32 v23, 0xff, v3
	v_sub_nc_u16 v3, v1, v2
	v_mad_u64_u32 v[1:2], null, 0x60, v23, s[2:3]
	buffer_store_dword v3, off, s[48:51], 0 offset:32 ; 4-byte Folded Spill
	v_mul_lo_u16 v3, 0x60, v3
	s_clause 0x3
	global_load_dwordx4 v[64:67], v[1:2], off offset:624
	global_load_dwordx4 v[56:59], v[1:2], off offset:640
	;; [unrolled: 1-line block ×4, first 2 shown]
	v_and_b32_e32 v3, 0xffff, v3
	v_add_co_u32 v3, s1, s2, v3
	v_add_co_ci_u32_e64 v4, null, s3, 0, s1
	s_clause 0x7
	global_load_dwordx4 v[68:71], v[1:2], off offset:688
	global_load_dwordx4 v[52:55], v[1:2], off offset:672
	;; [unrolled: 1-line block ×8, first 2 shown]
	s_waitcnt vmcnt(11) lgkmcnt(5)
	v_mul_f64 v[1:2], v[118:119], v[66:67]
	v_mul_f64 v[3:4], v[116:117], v[66:67]
	s_waitcnt vmcnt(10) lgkmcnt(4)
	v_mul_f64 v[5:6], v[114:115], v[58:59]
	v_mul_f64 v[7:8], v[112:113], v[58:59]
	;; [unrolled: 3-line block ×4, first 2 shown]
	s_waitcnt vmcnt(6)
	v_mul_f64 v[21:22], v[102:103], v[54:55]
	v_mul_f64 v[128:129], v[100:101], v[54:55]
	s_waitcnt vmcnt(5)
	v_mul_f64 v[130:131], v[86:87], v[164:165]
	s_waitcnt vmcnt(4)
	;; [unrolled: 2-line block ×3, first 2 shown]
	v_mul_f64 v[142:143], v[126:127], v[172:173]
	v_mul_f64 v[132:133], v[84:85], v[164:165]
	s_waitcnt vmcnt(0)
	v_mul_f64 v[150:151], v[82:83], v[176:177]
	v_mul_f64 v[136:137], v[88:89], v[160:161]
	;; [unrolled: 1-line block ×10, first 2 shown]
	v_fma_f64 v[1:2], v[116:117], v[64:65], -v[1:2]
	v_fma_f64 v[3:4], v[118:119], v[64:65], v[3:4]
	v_fma_f64 v[5:6], v[112:113], v[56:57], -v[5:6]
	v_fma_f64 v[7:8], v[114:115], v[56:57], v[7:8]
	v_fma_f64 v[13:14], v[120:121], v[60:61], -v[13:14]
	v_fma_f64 v[15:16], v[122:123], v[60:61], v[15:16]
	v_fma_f64 v[21:22], v[100:101], v[52:53], -v[21:22]
	v_fma_f64 v[100:101], v[102:103], v[52:53], v[128:129]
	v_fma_f64 v[84:85], v[84:85], v[162:163], -v[130:131]
	buffer_store_dword v162, off, s[48:51], 0 offset:76 ; 4-byte Folded Spill
	buffer_store_dword v163, off, s[48:51], 0 offset:80 ; 4-byte Folded Spill
	buffer_store_dword v164, off, s[48:51], 0 offset:84 ; 4-byte Folded Spill
	buffer_store_dword v165, off, s[48:51], 0 offset:88 ; 4-byte Folded Spill
	v_fma_f64 v[102:103], v[124:125], v[170:171], -v[142:143]
	buffer_store_dword v170, off, s[48:51], 0 offset:108 ; 4-byte Folded Spill
	buffer_store_dword v171, off, s[48:51], 0 offset:112 ; 4-byte Folded Spill
	buffer_store_dword v172, off, s[48:51], 0 offset:116 ; 4-byte Folded Spill
	buffer_store_dword v173, off, s[48:51], 0 offset:120 ; 4-byte Folded Spill
	;; [unrolled: 5-line block ×6, first 2 shown]
	v_fma_f64 v[17:18], v[108:109], v[68:69], -v[17:18]
	v_fma_f64 v[19:20], v[110:111], v[68:69], v[19:20]
	v_fma_f64 v[9:10], v[104:105], v[48:49], -v[9:10]
	v_fma_f64 v[11:12], v[106:107], v[48:49], v[11:12]
	v_add_f64 v[106:107], v[1:2], v[13:14]
	v_add_f64 v[108:109], v[3:4], v[15:16]
	v_add_f64 v[1:2], v[1:2], -v[13:14]
	v_add_f64 v[3:4], v[3:4], -v[15:16]
	v_add_f64 v[110:111], v[5:6], v[17:18]
	v_add_f64 v[112:113], v[7:8], v[19:20]
	;; [unrolled: 1-line block ×4, first 2 shown]
	v_add_f64 v[5:6], v[5:6], -v[17:18]
	v_add_f64 v[7:8], v[7:8], -v[19:20]
	v_add_f64 v[9:10], v[21:22], -v[9:10]
	v_add_f64 v[11:12], v[100:101], -v[11:12]
	v_add_f64 v[17:18], v[84:85], v[102:103]
	v_add_f64 v[21:22], v[84:85], -v[102:103]
	v_add_f64 v[102:103], v[110:111], -v[106:107]
	v_add_f64 v[114:115], v[9:10], v[5:6]
	v_add_f64 v[116:117], v[11:12], v[7:8]
	v_add_f64 v[118:119], v[9:10], -v[5:6]
	v_add_f64 v[120:121], v[11:12], -v[7:8]
	;; [unrolled: 1-line block ×6, first 2 shown]
	v_add_f64 v[114:115], v[114:115], v[1:2]
	v_add_f64 v[116:117], v[116:117], v[3:4]
	v_mul_f64 v[118:119], v[118:119], s[26:27]
	v_mul_f64 v[120:121], v[120:121], s[26:27]
	v_fma_f64 v[86:87], v[86:87], v[162:163], v[132:133]
	v_fma_f64 v[104:105], v[126:127], v[170:171], v[144:145]
	;; [unrolled: 1-line block ×6, first 2 shown]
	v_add_f64 v[19:20], v[86:87], v[104:105]
	v_add_f64 v[84:85], v[86:87], -v[104:105]
	v_add_f64 v[86:87], v[88:89], v[80:81]
	v_add_f64 v[80:81], v[88:89], -v[80:81]
	;; [unrolled: 2-line block ×5, first 2 shown]
	v_add_f64 v[76:77], v[110:111], v[106:107]
	v_add_f64 v[78:79], v[112:113], v[108:109]
	v_add_f64 v[104:105], v[112:113], -v[108:109]
	v_add_f64 v[110:111], v[13:14], -v[110:111]
	;; [unrolled: 1-line block ×5, first 2 shown]
	v_add_f64 v[122:123], v[86:87], v[17:18]
	v_add_f64 v[126:127], v[86:87], -v[17:18]
	v_add_f64 v[124:125], v[100:101], v[19:20]
	v_add_f64 v[128:129], v[100:101], -v[19:20]
	v_add_f64 v[17:18], v[17:18], -v[88:89]
	;; [unrolled: 1-line block ×5, first 2 shown]
	v_add_f64 v[130:131], v[72:73], v[80:81]
	v_add_f64 v[132:133], v[74:75], v[82:83]
	v_add_f64 v[134:135], v[72:73], -v[80:81]
	v_add_f64 v[136:137], v[74:75], -v[82:83]
	v_add_f64 v[13:14], v[13:14], v[76:77]
	v_add_f64 v[15:16], v[15:16], v[78:79]
	v_add_f64 v[76:77], v[21:22], -v[72:73]
	v_add_f64 v[78:79], v[84:85], -v[74:75]
	;; [unrolled: 1-line block ×4, first 2 shown]
	v_mul_f64 v[72:73], v[110:111], s[8:9]
	v_mul_f64 v[74:75], v[112:113], s[8:9]
	;; [unrolled: 1-line block ×4, first 2 shown]
	v_add_f64 v[88:89], v[88:89], v[122:123]
	v_mul_f64 v[122:123], v[5:6], s[10:11]
	v_add_f64 v[90:91], v[90:91], v[124:125]
	v_mul_f64 v[124:125], v[7:8], s[10:11]
	v_mul_f64 v[17:18], v[17:18], s[18:19]
	v_fma_f64 v[5:6], v[5:6], s[10:11], -v[118:119]
	v_mul_f64 v[19:20], v[19:20], s[18:19]
	v_fma_f64 v[7:8], v[7:8], s[10:11], -v[120:121]
	v_add_f64 v[21:22], v[130:131], v[21:22]
	v_add_f64 v[84:85], v[132:133], v[84:85]
	v_mul_f64 v[130:131], v[134:135], s[26:27]
	v_mul_f64 v[132:133], v[136:137], s[26:27]
	v_add_f64 v[1:2], v[96:97], v[13:14]
	v_add_f64 v[3:4], v[98:99], v[15:16]
	v_mul_f64 v[96:97], v[86:87], s[8:9]
	v_mul_f64 v[98:99], v[100:101], s[8:9]
	;; [unrolled: 1-line block ×4, first 2 shown]
	v_fma_f64 v[138:139], v[102:103], s[24:25], -v[72:73]
	v_fma_f64 v[140:141], v[104:105], s[24:25], -v[74:75]
	v_fma_f64 v[110:111], v[110:111], s[8:9], v[106:107]
	v_fma_f64 v[112:113], v[112:113], s[8:9], v[108:109]
	v_add_f64 v[72:73], v[92:93], v[88:89]
	v_fma_f64 v[92:93], v[102:103], s[20:21], -v[106:107]
	v_add_f64 v[74:75], v[94:95], v[90:91]
	v_fma_f64 v[94:95], v[104:105], s[20:21], -v[108:109]
	v_fma_f64 v[102:103], v[9:10], s[28:29], v[118:119]
	v_fma_f64 v[104:105], v[11:12], s[28:29], v[120:121]
	v_fma_f64 v[9:10], v[9:10], s[30:31], -v[122:123]
	v_fma_f64 v[11:12], v[11:12], s[30:31], -v[124:125]
	v_fma_f64 v[86:87], v[86:87], s[8:9], v[17:18]
	v_fma_f64 v[100:101], v[100:101], s[8:9], v[19:20]
	v_fma_f64 v[106:107], v[76:77], s[28:29], v[130:131]
	v_fma_f64 v[108:109], v[78:79], s[28:29], v[132:133]
	v_fma_f64 v[13:14], v[13:14], s[16:17], v[1:2]
	v_fma_f64 v[15:16], v[15:16], s[16:17], v[3:4]
	v_fma_f64 v[96:97], v[126:127], s[24:25], -v[96:97]
	v_fma_f64 v[98:99], v[128:129], s[24:25], -v[98:99]
	;; [unrolled: 1-line block ×8, first 2 shown]
	v_fma_f64 v[88:89], v[88:89], s[16:17], v[72:73]
	v_fma_f64 v[118:119], v[114:115], s[22:23], v[5:6]
	;; [unrolled: 1-line block ×10, first 2 shown]
	v_add_f64 v[110:111], v[110:111], v[13:14]
	v_add_f64 v[112:113], v[112:113], v[15:16]
	;; [unrolled: 1-line block ×5, first 2 shown]
	v_fma_f64 v[106:107], v[21:22], s[22:23], v[80:81]
	v_fma_f64 v[130:131], v[84:85], s[22:23], v[82:83]
	;; [unrolled: 1-line block ×4, first 2 shown]
	v_add_f64 v[122:123], v[138:139], v[13:14]
	v_add_f64 v[86:87], v[86:87], v[88:89]
	;; [unrolled: 1-line block ×8, first 2 shown]
	v_add_f64 v[7:8], v[112:113], -v[102:103]
	v_add_f64 v[9:10], v[116:117], v[92:93]
	v_add_f64 v[11:12], v[94:95], -v[114:115]
	v_add_f64 v[15:16], v[118:119], v[124:125]
	v_add_f64 v[19:20], v[124:125], -v[118:119]
	v_add_f64 v[76:77], v[92:93], -v[116:117]
	v_add_f64 v[78:79], v[114:115], v[94:95]
	v_add_f64 v[80:81], v[110:111], -v[104:105]
	v_add_f64 v[82:83], v[102:103], v[112:113]
	v_add_f64 v[116:117], v[128:129], v[86:87]
	v_add_f64 v[13:14], v[122:123], -v[120:121]
	v_add_f64 v[118:119], v[132:133], -v[126:127]
	v_add_f64 v[112:113], v[84:85], v[100:101]
	v_add_f64 v[114:115], v[134:135], -v[21:22]
	v_add_f64 v[108:109], v[88:89], -v[130:131]
	v_add_f64 v[110:111], v[106:107], v[90:91]
	v_add_f64 v[104:105], v[130:131], v[88:89]
	v_add_f64 v[106:107], v[90:91], -v[106:107]
	v_add_f64 v[100:101], v[100:101], -v[84:85]
	v_add_f64 v[102:103], v[21:22], v[134:135]
	v_add_f64 v[84:85], v[86:87], -v[128:129]
	v_add_f64 v[86:87], v[126:127], v[132:133]
	v_add_f64 v[17:18], v[120:121], v[122:123]
	v_mov_b32_e32 v21, 0x16c
	buffer_store_dword v84, off, s[48:51], 0 offset:12 ; 4-byte Folded Spill
	buffer_store_dword v85, off, s[48:51], 0 offset:16 ; 4-byte Folded Spill
	;; [unrolled: 1-line block ×4, first 2 shown]
	v_mul_u32_u24_sdwa v0, v0, v21 dst_sel:DWORD dst_unused:UNUSED_PAD src0_sel:WORD_0 src1_sel:DWORD
	s_waitcnt_vscnt null, 0x0
	s_barrier
	buffer_gl0_inv
	v_add_lshl_u32 v172, v0, v23, 4
	ds_write_b128 v172, v[1:4]
	ds_write_b128 v172, v[5:8] offset:832
	ds_write_b128 v172, v[9:12] offset:1664
	;; [unrolled: 1-line block ×6, first 2 shown]
	s_and_saveexec_b32 s1, s0
	s_cbranch_execz .LBB0_11
; %bb.10:
	buffer_load_dword v1, off, s[48:51], 0 offset:32 ; 4-byte Folded Reload
	v_mov_b32_e32 v0, 4
	s_waitcnt vmcnt(0)
	v_lshlrev_b32_sdwa v0, v0, v1 dst_sel:DWORD dst_unused:UNUSED_PAD src0_sel:DWORD src1_sel:WORD_0
	ds_write_b128 v0, v[72:75] offset:17472
	ds_write_b128 v0, v[116:119] offset:18304
	;; [unrolled: 1-line block ×6, first 2 shown]
	s_clause 0x3
	buffer_load_dword v1, off, s[48:51], 0 offset:12
	buffer_load_dword v2, off, s[48:51], 0 offset:16
	;; [unrolled: 1-line block ×4, first 2 shown]
	s_waitcnt vmcnt(0)
	ds_write_b128 v0, v[1:4] offset:22464
.LBB0_11:
	s_or_b32 exec_lo, exec_lo, s1
	v_add_co_u32 v98, s1, s2, v255
	v_add_co_ci_u32_e64 v99, null, s3, 0, s1
	s_waitcnt lgkmcnt(0)
	v_add_co_u32 v0, s1, 0x1000, v98
	v_add_co_ci_u32_e64 v1, s1, 0, v99, s1
	v_add_co_u32 v2, s1, 0x2000, v98
	v_add_co_ci_u32_e64 v3, s1, 0, v99, s1
	s_barrier
	buffer_gl0_inv
	s_clause 0x1
	global_load_dwordx4 v[72:75], v[0:1], off offset:1520
	global_load_dwordx4 v[76:79], v[2:3], off offset:336
	ds_read_b128 v[0:3], v255 offset:11648
	ds_read_b128 v[4:7], v255 offset:14560
	;; [unrolled: 1-line block ×4, first 2 shown]
	ds_read_b128 v[16:19], v255
	ds_read_b128 v[20:23], v255 offset:2912
	s_waitcnt vmcnt(1) lgkmcnt(5)
	v_mul_f64 v[80:81], v[2:3], v[74:75]
	v_mul_f64 v[82:83], v[0:1], v[74:75]
	s_waitcnt vmcnt(0) lgkmcnt(4)
	v_mul_f64 v[84:85], v[6:7], v[78:79]
	v_mul_f64 v[86:87], v[4:5], v[78:79]
	s_waitcnt lgkmcnt(3)
	v_mul_f64 v[88:89], v[10:11], v[74:75]
	v_mul_f64 v[90:91], v[8:9], v[74:75]
	s_waitcnt lgkmcnt(2)
	v_mul_f64 v[92:93], v[14:15], v[78:79]
	v_mul_f64 v[94:95], v[12:13], v[78:79]
	v_fma_f64 v[80:81], v[0:1], v[72:73], -v[80:81]
	v_fma_f64 v[82:83], v[2:3], v[72:73], v[82:83]
	v_fma_f64 v[84:85], v[4:5], v[76:77], -v[84:85]
	v_fma_f64 v[86:87], v[6:7], v[76:77], v[86:87]
	;; [unrolled: 2-line block ×4, first 2 shown]
	ds_read_b128 v[0:3], v255 offset:5824
	ds_read_b128 v[4:7], v255 offset:8736
	s_waitcnt lgkmcnt(0)
	s_barrier
	buffer_gl0_inv
	v_add_f64 v[8:9], v[16:17], -v[80:81]
	v_add_f64 v[10:11], v[18:19], -v[82:83]
	;; [unrolled: 1-line block ×8, first 2 shown]
	v_add_co_u32 v88, s1, 0x2800, v98
	v_add_co_ci_u32_e64 v89, s1, 0, v99, s1
	v_add_co_u32 v90, s1, 0x3800, v98
	v_add_co_ci_u32_e64 v91, s1, 0, v99, s1
	v_add_co_u32 v96, s1, 0x4000, v98
	v_add_co_ci_u32_e64 v97, s1, 0, v99, s1
	v_fma_f64 v[16:17], v[16:17], 2.0, -v[8:9]
	v_fma_f64 v[18:19], v[18:19], 2.0, -v[10:11]
	;; [unrolled: 1-line block ×8, first 2 shown]
	ds_write_b128 v255, v[8:11] offset:5824
	ds_write_b128 v255, v[12:15] offset:8736
	ds_write_b128 v255, v[80:83] offset:17472
	ds_write_b128 v255, v[84:87] offset:20384
	ds_write_b128 v255, v[16:19]
	ds_write_b128 v255, v[20:23] offset:2912
	ds_write_b128 v255, v[0:3] offset:11648
	;; [unrolled: 1-line block ×3, first 2 shown]
	v_add_co_u32 v0, s1, 0x4800, v98
	v_add_co_ci_u32_e64 v1, s1, 0, v99, s1
	s_waitcnt lgkmcnt(0)
	s_barrier
	buffer_gl0_inv
	s_clause 0x3
	global_load_dwordx4 v[80:83], v[88:89], off offset:1200
	global_load_dwordx4 v[92:95], v[90:91], off offset:16
	;; [unrolled: 1-line block ×4, first 2 shown]
	ds_read_b128 v[0:3], v255 offset:11648
	ds_read_b128 v[4:7], v255 offset:14560
	;; [unrolled: 1-line block ×4, first 2 shown]
	ds_read_b128 v[16:19], v255
	ds_read_b128 v[20:23], v255 offset:2912
	s_waitcnt vmcnt(2) lgkmcnt(4)
	v_mul_f64 v[120:121], v[6:7], v[94:95]
	v_mul_f64 v[96:97], v[2:3], v[82:83]
	;; [unrolled: 1-line block ×4, first 2 shown]
	s_waitcnt vmcnt(1) lgkmcnt(3)
	v_mul_f64 v[124:125], v[10:11], v[86:87]
	v_mul_f64 v[126:127], v[8:9], v[86:87]
	s_waitcnt vmcnt(0) lgkmcnt(2)
	v_mul_f64 v[128:129], v[14:15], v[90:91]
	v_mul_f64 v[130:131], v[12:13], v[90:91]
	v_fma_f64 v[120:121], v[4:5], v[92:93], -v[120:121]
	v_fma_f64 v[96:97], v[0:1], v[80:81], -v[96:97]
	v_fma_f64 v[98:99], v[2:3], v[80:81], v[98:99]
	v_fma_f64 v[122:123], v[6:7], v[92:93], v[122:123]
	v_fma_f64 v[8:9], v[8:9], v[84:85], -v[124:125]
	v_fma_f64 v[10:11], v[10:11], v[84:85], v[126:127]
	v_fma_f64 v[12:13], v[12:13], v[88:89], -v[128:129]
	v_fma_f64 v[14:15], v[14:15], v[88:89], v[130:131]
	ds_read_b128 v[0:3], v255 offset:5824
	ds_read_b128 v[4:7], v255 offset:8736
	s_waitcnt lgkmcnt(2)
	v_add_f64 v[132:133], v[20:21], -v[120:121]
	v_add_f64 v[128:129], v[16:17], -v[96:97]
	v_add_f64 v[130:131], v[18:19], -v[98:99]
	v_add_f64 v[134:135], v[22:23], -v[122:123]
	s_waitcnt lgkmcnt(1)
	v_add_f64 v[140:141], v[0:1], -v[8:9]
	v_add_f64 v[142:143], v[2:3], -v[10:11]
	s_waitcnt lgkmcnt(0)
	v_add_f64 v[124:125], v[4:5], -v[12:13]
	v_add_f64 v[126:127], v[6:7], -v[14:15]
	v_fma_f64 v[136:137], v[20:21], 2.0, -v[132:133]
	v_fma_f64 v[120:121], v[16:17], 2.0, -v[128:129]
	;; [unrolled: 1-line block ×8, first 2 shown]
	ds_write_b128 v255, v[128:131] offset:11648
	ds_write_b128 v255, v[132:135] offset:14560
	;; [unrolled: 1-line block ×4, first 2 shown]
	ds_write_b128 v255, v[120:123]
	ds_write_b128 v255, v[136:139] offset:2912
	ds_write_b128 v255, v[148:151] offset:5824
	;; [unrolled: 1-line block ×3, first 2 shown]
	s_waitcnt lgkmcnt(0)
	s_barrier
	buffer_gl0_inv
	s_and_saveexec_b32 s8, vcc_lo
	s_cbranch_execz .LBB0_13
; %bb.12:
	s_add_u32 s2, s14, 0x5b00
	s_addc_u32 s3, s15, 0
	v_or_b32_e32 v8, 0x3800, v255
	s_clause 0x1
	global_load_dwordx4 v[0:3], v255, s[2:3]
	global_load_dwordx4 v[4:7], v255, s[2:3] offset:1792
	v_add_co_u32 v173, s1, s2, v255
	v_add_co_ci_u32_e64 v174, null, s3, 0, s1
	global_load_dwordx4 v[8:11], v8, s[2:3]
	v_add_co_u32 v12, s1, 0x800, v173
	v_add_co_ci_u32_e64 v13, s1, 0, v174, s1
	v_add_co_u32 v16, s1, 0x1000, v173
	v_add_co_ci_u32_e64 v17, s1, 0, v174, s1
	global_load_dwordx4 v[12:15], v[12:13], off offset:1536
	v_add_co_u32 v20, s1, 0x1800, v173
	global_load_dwordx4 v[16:19], v[16:17], off offset:1280
	v_add_co_ci_u32_e64 v21, s1, 0, v174, s1
	v_add_co_u32 v96, s1, 0x2000, v173
	v_add_co_ci_u32_e64 v97, s1, 0, v174, s1
	global_load_dwordx4 v[20:23], v[20:21], off offset:1024
	v_add_co_u32 v152, s1, 0x2800, v173
	global_load_dwordx4 v[96:99], v[96:97], off offset:768
	;; [unrolled: 6-line block ×4, first 2 shown]
	v_add_co_ci_u32_e64 v169, s1, 0, v174, s1
	v_add_co_u32 v173, s1, 0x5000, v173
	v_add_co_ci_u32_e64 v174, s1, 0, v174, s1
	global_load_dwordx4 v[168:171], v[168:169], off offset:1280
	ds_read_b128 v[177:180], v255
	ds_read_b128 v[181:184], v255 offset:1792
	global_load_dwordx4 v[173:176], v[173:174], off offset:1024
	s_waitcnt vmcnt(12) lgkmcnt(1)
	v_mul_f64 v[185:186], v[179:180], v[2:3]
	v_mul_f64 v[2:3], v[177:178], v[2:3]
	v_fma_f64 v[177:178], v[177:178], v[0:1], -v[185:186]
	v_fma_f64 v[179:180], v[179:180], v[0:1], v[2:3]
	ds_read_b128 v[0:3], v255 offset:14336
	s_waitcnt vmcnt(11) lgkmcnt(1)
	v_mul_f64 v[185:186], v[183:184], v[6:7]
	v_mul_f64 v[6:7], v[181:182], v[6:7]
	s_waitcnt vmcnt(10) lgkmcnt(0)
	v_mul_f64 v[187:188], v[2:3], v[10:11]
	v_mul_f64 v[10:11], v[0:1], v[10:11]
	v_fma_f64 v[181:182], v[181:182], v[4:5], -v[185:186]
	v_fma_f64 v[183:184], v[183:184], v[4:5], v[6:7]
	ds_read_b128 v[4:7], v255 offset:3584
	v_fma_f64 v[0:1], v[0:1], v[8:9], -v[187:188]
	v_fma_f64 v[2:3], v[2:3], v[8:9], v[10:11]
	ds_read_b128 v[8:11], v255 offset:5376
	s_waitcnt vmcnt(9) lgkmcnt(1)
	v_mul_f64 v[185:186], v[6:7], v[14:15]
	v_mul_f64 v[14:15], v[4:5], v[14:15]
	s_waitcnt vmcnt(8) lgkmcnt(0)
	v_mul_f64 v[187:188], v[10:11], v[18:19]
	v_mul_f64 v[18:19], v[8:9], v[18:19]
	v_fma_f64 v[4:5], v[4:5], v[12:13], -v[185:186]
	v_fma_f64 v[6:7], v[6:7], v[12:13], v[14:15]
	ds_read_b128 v[12:15], v255 offset:7168
	;; [unrolled: 12-line block ×5, first 2 shown]
	v_fma_f64 v[156:157], v[156:157], v[164:165], -v[187:188]
	v_fma_f64 v[158:159], v[158:159], v[164:165], v[166:167]
	ds_read_b128 v[164:167], v255 offset:21504
	s_waitcnt vmcnt(1) lgkmcnt(1)
	v_mul_f64 v[185:186], v[162:163], v[170:171]
	v_mul_f64 v[170:171], v[160:161], v[170:171]
	s_waitcnt vmcnt(0) lgkmcnt(0)
	v_mul_f64 v[187:188], v[166:167], v[175:176]
	v_fma_f64 v[160:161], v[160:161], v[168:169], -v[185:186]
	v_fma_f64 v[162:163], v[162:163], v[168:169], v[170:171]
	v_mul_f64 v[168:169], v[164:165], v[175:176]
	v_fma_f64 v[164:165], v[164:165], v[173:174], -v[187:188]
	v_fma_f64 v[166:167], v[166:167], v[173:174], v[168:169]
	ds_write_b128 v255, v[177:180]
	ds_write_b128 v255, v[181:184] offset:1792
	ds_write_b128 v255, v[0:3] offset:14336
	;; [unrolled: 1-line block ×12, first 2 shown]
.LBB0_13:
	s_or_b32 exec_lo, exec_lo, s8
	s_waitcnt lgkmcnt(0)
	s_barrier
	buffer_gl0_inv
	s_and_saveexec_b32 s1, vcc_lo
	s_cbranch_execz .LBB0_15
; %bb.14:
	ds_read_b128 v[120:123], v255
	ds_read_b128 v[128:131], v255 offset:1792
	ds_read_b128 v[136:139], v255 offset:3584
	;; [unrolled: 1-line block ×12, first 2 shown]
.LBB0_15:
	s_or_b32 exec_lo, exec_lo, s1
	s_waitcnt lgkmcnt(0)
	v_add_f64 v[175:176], v[130:131], -v[102:103]
	s_mov_b32 s8, 0x4267c47c
	s_mov_b32 s9, 0xbfddbe06
	v_add_f64 v[189:190], v[102:103], v[130:131]
	v_add_f64 v[177:178], v[138:139], -v[106:107]
	s_mov_b32 s2, 0xe00740e9
	s_mov_b32 s10, 0x42a4c3d2
	s_mov_b32 s3, 0x3fec55a7
	s_mov_b32 s11, 0xbfea55e2
	v_add_f64 v[181:182], v[106:107], v[138:139]
	v_add_f64 v[187:188], v[134:135], -v[110:111]
	s_mov_b32 s16, 0x1ea71119
	s_mov_b32 s20, 0x66966769
	;; [unrolled: 6-line block ×3, first 2 shown]
	s_mov_b32 s19, 0x3fbedb7d
	s_mov_b32 s23, 0xbfedeba7
	v_add_f64 v[223:224], v[150:151], v[114:115]
	v_mul_f64 v[0:1], v[175:176], s[8:9]
	v_add_f64 v[209:210], v[142:143], -v[118:119]
	s_mov_b32 s26, 0xb2365da1
	v_mul_f64 v[2:3], v[189:190], s[2:3]
	v_mul_f64 v[4:5], v[177:178], s[10:11]
	s_mov_b32 s24, 0x24c2f84
	s_mov_b32 s27, 0xbfd6b1d8
	;; [unrolled: 1-line block ×3, first 2 shown]
	v_add_f64 v[173:174], v[100:101], v[128:129]
	v_mul_f64 v[6:7], v[181:182], s[16:17]
	v_mul_f64 v[8:9], v[187:188], s[20:21]
	v_add_f64 v[179:180], v[104:105], v[136:137]
	v_add_f64 v[185:186], v[128:129], -v[100:101]
	v_add_f64 v[195:196], v[136:137], -v[104:105]
	v_add_f64 v[191:192], v[132:133], v[108:109]
	v_mul_f64 v[14:15], v[199:200], s[18:19]
	v_mul_f64 v[12:13], v[197:198], s[22:23]
	v_add_f64 v[207:208], v[132:133], -v[108:109]
	v_add_f64 v[201:202], v[148:149], v[112:113]
	v_add_f64 v[213:214], v[116:117], v[140:141]
	s_mov_b32 s28, 0xd0032e0c
	v_mul_f64 v[16:17], v[223:224], s[26:27]
	buffer_store_dword v0, off, s[48:51], 0 offset:140 ; 4-byte Folded Spill
	buffer_store_dword v1, off, s[48:51], 0 offset:144 ; 4-byte Folded Spill
	;; [unrolled: 1-line block ×10, first 2 shown]
	v_mul_f64 v[10:11], v[209:210], s[24:25]
	buffer_store_dword v14, off, s[48:51], 0 offset:212 ; 4-byte Folded Spill
	buffer_store_dword v15, off, s[48:51], 0 offset:216 ; 4-byte Folded Spill
	;; [unrolled: 1-line block ×8, first 2 shown]
	s_mov_b32 s29, 0xbfe7f3cc
	v_add_f64 v[245:246], v[118:119], v[142:143]
	v_add_f64 v[231:232], v[146:147], -v[126:127]
	s_mov_b32 s30, 0x4bc48dbf
	s_mov_b32 s31, 0xbfcea1e5
	v_add_f64 v[225:226], v[124:125], v[144:145]
	s_mov_b32 s34, 0x93053d00
	s_mov_b32 s35, 0xbfef11f4
	v_add_f64 v[229:230], v[126:127], v[146:147]
	v_add_f64 v[227:228], v[148:149], -v[112:113]
	v_add_f64 v[217:218], v[140:141], -v[116:117]
	;; [unrolled: 1-line block ×3, first 2 shown]
	v_mul_f64 v[193:194], v[175:176], s[10:11]
	v_mul_f64 v[203:204], v[189:190], s[16:17]
	s_mov_b32 s41, 0x3fe5384d
	s_mov_b32 s40, s24
	;; [unrolled: 1-line block ×6, first 2 shown]
	v_mul_f64 v[221:222], v[175:176], s[20:21]
	v_mul_f64 v[249:250], v[177:178], s[30:31]
	;; [unrolled: 1-line block ×3, first 2 shown]
	s_mov_b32 s45, 0x3fedeba7
	s_mov_b32 s44, s22
	v_mul_f64 v[251:252], v[199:200], s[26:27]
	v_mul_f64 v[247:248], v[187:188], s[44:45]
	;; [unrolled: 1-line block ×8, first 2 shown]
	s_mov_b32 s47, 0x3fcea1e5
	s_mov_b32 s46, s30
	v_mul_f64 v[96:97], v[245:246], s[34:35]
	v_mul_f64 v[253:254], v[209:210], s[46:47]
	s_mov_b32 s42, s10
	v_mul_f64 v[235:236], v[175:176], s[24:25]
	v_mul_f64 v[237:238], v[189:190], s[28:29]
	;; [unrolled: 1-line block ×5, first 2 shown]
	v_fma_f64 v[0:1], v[173:174], s[2:3], -v[0:1]
	v_fma_f64 v[2:3], v[185:186], s[8:9], v[2:3]
	v_fma_f64 v[4:5], v[179:180], s[16:17], -v[4:5]
	v_fma_f64 v[6:7], v[195:196], s[10:11], v[6:7]
	v_fma_f64 v[8:9], v[191:192], s[18:19], -v[8:9]
	v_add_f64 v[0:1], v[120:121], v[0:1]
	v_add_f64 v[2:3], v[122:123], v[2:3]
	;; [unrolled: 1-line block ×3, first 2 shown]
	v_fma_f64 v[4:5], v[207:208], s[20:21], v[14:15]
	v_mul_f64 v[14:15], v[177:178], s[36:37]
	v_add_f64 v[2:3], v[6:7], v[2:3]
	v_fma_f64 v[6:7], v[201:202], s[26:27], -v[12:13]
	v_mul_f64 v[12:13], v[245:246], s[28:29]
	buffer_store_dword v12, off, s[48:51], 0 offset:188 ; 4-byte Folded Spill
	buffer_store_dword v13, off, s[48:51], 0 offset:192 ; 4-byte Folded Spill
	v_add_f64 v[0:1], v[8:9], v[0:1]
	v_add_f64 v[2:3], v[4:5], v[2:3]
	v_fma_f64 v[4:5], v[213:214], s[28:29], -v[10:11]
	v_fma_f64 v[8:9], v[227:228], s[22:23], v[16:17]
	v_mul_f64 v[16:17], v[187:188], s[10:11]
	v_add_f64 v[0:1], v[6:7], v[0:1]
	v_add_f64 v[2:3], v[8:9], v[2:3]
	;; [unrolled: 1-line block ×3, first 2 shown]
	v_mul_f64 v[4:5], v[231:232], s[30:31]
	buffer_store_dword v4, off, s[48:51], 0 offset:204 ; 4-byte Folded Spill
	buffer_store_dword v5, off, s[48:51], 0 offset:208 ; 4-byte Folded Spill
	v_fma_f64 v[6:7], v[217:218], s[24:25], v[12:13]
	v_mul_f64 v[12:13], v[189:190], s[18:19]
	v_add_f64 v[2:3], v[6:7], v[2:3]
	v_fma_f64 v[4:5], v[225:226], s[34:35], -v[4:5]
	v_add_f64 v[152:153], v[4:5], v[0:1]
	v_mul_f64 v[0:1], v[229:230], s[34:35]
	v_mul_f64 v[4:5], v[181:182], s[26:27]
	buffer_store_dword v0, off, s[48:51], 0 offset:220 ; 4-byte Folded Spill
	buffer_store_dword v1, off, s[48:51], 0 offset:224 ; 4-byte Folded Spill
	v_fma_f64 v[0:1], v[239:240], s[30:31], v[0:1]
	v_add_f64 v[154:155], v[0:1], v[2:3]
	v_mul_f64 v[2:3], v[177:178], s[22:23]
	v_fma_f64 v[0:1], v[173:174], s[16:17], -v[193:194]
	buffer_store_dword v2, off, s[48:51], 0 offset:324 ; 4-byte Folded Spill
	buffer_store_dword v3, off, s[48:51], 0 offset:328 ; 4-byte Folded Spill
	buffer_store_dword v4, off, s[48:51], 0 offset:340 ; 4-byte Folded Spill
	buffer_store_dword v5, off, s[48:51], 0 offset:344 ; 4-byte Folded Spill
	v_add_f64 v[0:1], v[120:121], v[0:1]
	v_fma_f64 v[2:3], v[179:180], s[26:27], -v[2:3]
	v_fma_f64 v[4:5], v[195:196], s[22:23], v[4:5]
	v_add_f64 v[0:1], v[2:3], v[0:1]
	v_fma_f64 v[2:3], v[185:186], s[10:11], v[203:204]
	v_add_f64 v[2:3], v[122:123], v[2:3]
	v_add_f64 v[2:3], v[4:5], v[2:3]
	v_mul_f64 v[4:5], v[187:188], s[30:31]
	buffer_store_dword v4, off, s[48:51], 0 offset:300 ; 4-byte Folded Spill
	buffer_store_dword v5, off, s[48:51], 0 offset:304 ; 4-byte Folded Spill
	v_fma_f64 v[4:5], v[191:192], s[34:35], -v[4:5]
	v_add_f64 v[0:1], v[4:5], v[0:1]
	v_mul_f64 v[4:5], v[199:200], s[34:35]
	buffer_store_dword v4, off, s[48:51], 0 offset:316 ; 4-byte Folded Spill
	buffer_store_dword v5, off, s[48:51], 0 offset:320 ; 4-byte Folded Spill
	v_fma_f64 v[4:5], v[207:208], s[30:31], v[4:5]
	v_add_f64 v[2:3], v[4:5], v[2:3]
	v_mul_f64 v[4:5], v[197:198], s[40:41]
	buffer_store_dword v4, off, s[48:51], 0 offset:284 ; 4-byte Folded Spill
	buffer_store_dword v5, off, s[48:51], 0 offset:288 ; 4-byte Folded Spill
	v_fma_f64 v[4:5], v[201:202], s[28:29], -v[4:5]
	v_add_f64 v[0:1], v[4:5], v[0:1]
	v_mul_f64 v[4:5], v[223:224], s[28:29]
	buffer_store_dword v4, off, s[48:51], 0 offset:292 ; 4-byte Folded Spill
	buffer_store_dword v5, off, s[48:51], 0 offset:296 ; 4-byte Folded Spill
	v_fma_f64 v[4:5], v[227:228], s[40:41], v[4:5]
	;; [unrolled: 10-line block ×3, first 2 shown]
	v_add_f64 v[2:3], v[4:5], v[2:3]
	v_mul_f64 v[4:5], v[231:232], s[38:39]
	buffer_store_dword v4, off, s[48:51], 0 offset:236 ; 4-byte Folded Spill
	buffer_store_dword v5, off, s[48:51], 0 offset:240 ; 4-byte Folded Spill
	v_fma_f64 v[4:5], v[225:226], s[2:3], -v[4:5]
	v_add_f64 v[156:157], v[4:5], v[0:1]
	v_mul_f64 v[0:1], v[229:230], s[2:3]
	v_fma_f64 v[4:5], v[195:196], s[30:31], v[98:99]
	buffer_store_dword v0, off, s[48:51], 0 offset:244 ; 4-byte Folded Spill
	buffer_store_dword v1, off, s[48:51], 0 offset:248 ; 4-byte Folded Spill
	v_fma_f64 v[0:1], v[239:240], s[38:39], v[0:1]
	v_add_f64 v[158:159], v[0:1], v[2:3]
	v_fma_f64 v[0:1], v[173:174], s[18:19], -v[221:222]
	v_fma_f64 v[2:3], v[179:180], s[34:35], -v[249:250]
	v_add_f64 v[0:1], v[120:121], v[0:1]
	v_add_f64 v[0:1], v[2:3], v[0:1]
	v_fma_f64 v[2:3], v[185:186], s[20:21], v[12:13]
	v_add_f64 v[2:3], v[122:123], v[2:3]
	v_add_f64 v[2:3], v[4:5], v[2:3]
	v_fma_f64 v[4:5], v[191:192], s[26:27], -v[247:248]
	v_add_f64 v[0:1], v[4:5], v[0:1]
	v_fma_f64 v[4:5], v[207:208], s[44:45], v[251:252]
	v_add_f64 v[2:3], v[4:5], v[2:3]
	v_mul_f64 v[4:5], v[197:198], s[38:39]
	buffer_store_dword v4, off, s[48:51], 0 offset:364 ; 4-byte Folded Spill
	buffer_store_dword v5, off, s[48:51], 0 offset:368 ; 4-byte Folded Spill
	v_fma_f64 v[4:5], v[201:202], s[2:3], -v[4:5]
	v_add_f64 v[0:1], v[4:5], v[0:1]
	v_mul_f64 v[4:5], v[223:224], s[2:3]
	buffer_store_dword v4, off, s[48:51], 0 offset:372 ; 4-byte Folded Spill
	buffer_store_dword v5, off, s[48:51], 0 offset:376 ; 4-byte Folded Spill
	v_fma_f64 v[4:5], v[227:228], s[38:39], v[4:5]
	v_add_f64 v[2:3], v[4:5], v[2:3]
	v_mul_f64 v[4:5], v[209:210], s[10:11]
	buffer_store_dword v4, off, s[48:51], 0 offset:348 ; 4-byte Folded Spill
	buffer_store_dword v5, off, s[48:51], 0 offset:352 ; 4-byte Folded Spill
	v_fma_f64 v[4:5], v[213:214], s[16:17], -v[4:5]
	v_add_f64 v[0:1], v[4:5], v[0:1]
	v_mul_f64 v[4:5], v[245:246], s[16:17]
	buffer_store_dword v4, off, s[48:51], 0 offset:356 ; 4-byte Folded Spill
	buffer_store_dword v5, off, s[48:51], 0 offset:360 ; 4-byte Folded Spill
	;; [unrolled: 10-line block ×3, first 2 shown]
	v_fma_f64 v[0:1], v[239:240], s[24:25], v[0:1]
	v_add_f64 v[162:163], v[0:1], v[2:3]
	v_fma_f64 v[0:1], v[173:174], s[26:27], -v[22:23]
	v_fma_f64 v[2:3], v[179:180], s[28:29], -v[215:216]
	v_add_f64 v[0:1], v[120:121], v[0:1]
	v_add_f64 v[0:1], v[2:3], v[0:1]
	v_fma_f64 v[2:3], v[185:186], s[22:23], v[233:234]
	v_add_f64 v[4:5], v[122:123], v[2:3]
	v_mul_f64 v[2:3], v[181:182], s[28:29]
	v_fma_f64 v[6:7], v[195:196], s[40:41], v[2:3]
	v_add_f64 v[6:7], v[6:7], v[4:5]
	v_fma_f64 v[4:5], v[191:192], s[2:3], -v[219:220]
	v_add_f64 v[0:1], v[4:5], v[0:1]
	v_mul_f64 v[4:5], v[199:200], s[2:3]
	v_fma_f64 v[8:9], v[207:208], s[38:39], v[4:5]
	v_add_f64 v[6:7], v[8:9], v[6:7]
	v_fma_f64 v[8:9], v[201:202], s[18:19], -v[205:206]
	v_add_f64 v[0:1], v[8:9], v[0:1]
	v_fma_f64 v[8:9], v[227:228], s[20:21], v[211:212]
	v_add_f64 v[6:7], v[8:9], v[6:7]
	v_fma_f64 v[8:9], v[213:214], s[34:35], -v[253:254]
	v_add_f64 v[0:1], v[8:9], v[0:1]
	v_fma_f64 v[8:9], v[217:218], s[46:47], v[96:97]
	v_add_f64 v[6:7], v[8:9], v[6:7]
	v_mul_f64 v[8:9], v[231:232], s[42:43]
	buffer_store_dword v8, off, s[48:51], 0 offset:308 ; 4-byte Folded Spill
	buffer_store_dword v9, off, s[48:51], 0 offset:312 ; 4-byte Folded Spill
	v_fma_f64 v[8:9], v[225:226], s[16:17], -v[8:9]
	v_add_f64 v[164:165], v[8:9], v[0:1]
	v_mul_f64 v[0:1], v[229:230], s[16:17]
	buffer_store_dword v0, off, s[48:51], 0 offset:332 ; 4-byte Folded Spill
	buffer_store_dword v1, off, s[48:51], 0 offset:336 ; 4-byte Folded Spill
	v_fma_f64 v[8:9], v[195:196], s[36:37], v[18:19]
	s_waitcnt_vscnt null, 0x0
	s_barrier
	buffer_gl0_inv
	v_fma_f64 v[0:1], v[239:240], s[42:43], v[0:1]
	v_add_f64 v[166:167], v[0:1], v[6:7]
	v_fma_f64 v[0:1], v[173:174], s[28:29], -v[235:236]
	v_fma_f64 v[6:7], v[179:180], s[18:19], -v[14:15]
	v_add_f64 v[0:1], v[120:121], v[0:1]
	v_add_f64 v[0:1], v[6:7], v[0:1]
	v_fma_f64 v[6:7], v[185:186], s[24:25], v[237:238]
	v_add_f64 v[6:7], v[122:123], v[6:7]
	v_add_f64 v[6:7], v[8:9], v[6:7]
	v_fma_f64 v[8:9], v[191:192], s[16:17], -v[16:17]
	v_add_f64 v[0:1], v[8:9], v[0:1]
	v_fma_f64 v[8:9], v[207:208], s[10:11], v[20:21]
	v_add_f64 v[6:7], v[8:9], v[6:7]
	v_mul_f64 v[8:9], v[197:198], s[46:47]
	v_fma_f64 v[10:11], v[201:202], s[34:35], -v[8:9]
	v_add_f64 v[168:169], v[10:11], v[0:1]
	v_mul_f64 v[10:11], v[223:224], s[34:35]
	v_fma_f64 v[0:1], v[227:228], s[46:47], v[10:11]
	v_add_f64 v[170:171], v[0:1], v[6:7]
	v_mul_f64 v[0:1], v[209:210], s[38:39]
	v_fma_f64 v[6:7], v[213:214], s[2:3], -v[0:1]
	v_add_f64 v[168:169], v[6:7], v[168:169]
	v_mul_f64 v[6:7], v[245:246], s[2:3]
	v_fma_f64 v[183:184], v[217:218], s[38:39], v[6:7]
	v_add_f64 v[170:171], v[183:184], v[170:171]
	v_fma_f64 v[183:184], v[225:226], s[26:27], -v[243:244]
	v_add_f64 v[168:169], v[183:184], v[168:169]
	v_mul_f64 v[183:184], v[229:230], s[26:27]
	v_fma_f64 v[241:242], v[239:240], s[22:23], v[183:184]
	v_add_f64 v[170:171], v[241:242], v[170:171]
	s_and_saveexec_b32 s1, vcc_lo
	s_cbranch_execz .LBB0_17
; %bb.16:
	v_add_f64 v[128:129], v[120:121], v[128:129]
	v_add_f64 v[130:131], v[122:123], v[130:131]
	v_mul_f64 v[177:178], v[177:178], s[38:39]
	v_mul_f64 v[187:188], v[187:188], s[24:25]
	;; [unrolled: 1-line block ×3, first 2 shown]
	v_add_f64 v[128:129], v[136:137], v[128:129]
	v_add_f64 v[130:131], v[138:139], v[130:131]
	s_clause 0x1
	buffer_load_dword v138, off, s[48:51], 0 offset:156
	buffer_load_dword v139, off, s[48:51], 0 offset:160
	v_mul_f64 v[136:137], v[185:186], s[8:9]
	v_add_f64 v[128:129], v[132:133], v[128:129]
	v_add_f64 v[130:131], v[134:135], v[130:131]
	v_mul_f64 v[132:133], v[185:186], s[10:11]
	v_mul_f64 v[134:135], v[173:174], s[16:17]
	v_add_f64 v[128:129], v[148:149], v[128:129]
	v_add_f64 v[130:131], v[150:151], v[130:131]
	v_add_f64 v[132:133], v[203:204], -v[132:133]
	v_add_f64 v[134:135], v[134:135], v[193:194]
	v_mul_f64 v[148:149], v[217:218], s[22:23]
	v_mul_f64 v[193:194], v[179:180], s[16:17]
	;; [unrolled: 1-line block ×3, first 2 shown]
	v_add_f64 v[128:129], v[140:141], v[128:129]
	v_add_f64 v[130:131], v[142:143], v[130:131]
	v_mul_f64 v[142:143], v[173:174], s[2:3]
	v_add_f64 v[132:133], v[122:123], v[132:133]
	v_add_f64 v[134:135], v[120:121], v[134:135]
	v_fma_f64 v[150:151], v[245:246], s[26:27], v[148:149]
	v_fma_f64 v[148:149], v[245:246], s[26:27], -v[148:149]
	v_add_f64 v[203:204], v[203:204], v[219:220]
	v_mul_f64 v[219:220], v[191:192], s[26:27]
	v_add_f64 v[128:129], v[144:145], v[128:129]
	v_add_f64 v[130:131], v[146:147], v[130:131]
	s_clause 0x1
	buffer_load_dword v144, off, s[48:51], 0 offset:140
	buffer_load_dword v145, off, s[48:51], 0 offset:144
	v_add_f64 v[219:220], v[219:220], v[247:248]
	v_add_f64 v[124:125], v[124:125], v[128:129]
	;; [unrolled: 1-line block ×3, first 2 shown]
	v_mul_f64 v[130:131], v[173:174], s[26:27]
	v_mul_f64 v[128:129], v[185:186], s[22:23]
	v_add_f64 v[116:117], v[116:117], v[124:125]
	v_mul_f64 v[124:125], v[185:186], s[24:25]
	v_add_f64 v[22:23], v[130:131], v[22:23]
	;; [unrolled: 2-line block ×3, first 2 shown]
	v_mul_f64 v[126:127], v[173:174], s[28:29]
	v_add_f64 v[128:129], v[233:234], -v[128:129]
	v_add_f64 v[112:113], v[112:113], v[116:117]
	v_mul_f64 v[116:117], v[185:186], s[30:31]
	s_clause 0x1
	buffer_load_dword v185, off, s[48:51], 0 offset:340
	buffer_load_dword v186, off, s[48:51], 0 offset:344
	v_add_f64 v[124:125], v[237:238], -v[124:125]
	v_add_f64 v[114:115], v[114:115], v[118:119]
	v_add_f64 v[12:13], v[12:13], -v[130:131]
	v_mul_f64 v[130:131], v[173:174], s[18:19]
	v_add_f64 v[126:127], v[126:127], v[235:236]
	v_add_f64 v[128:129], v[122:123], v[128:129]
	;; [unrolled: 1-line block ×4, first 2 shown]
	v_mul_f64 v[112:113], v[195:196], s[38:39]
	v_fma_f64 v[118:119], v[189:190], s[34:35], v[116:117]
	v_fma_f64 v[116:117], v[189:190], s[34:35], -v[116:117]
	v_add_f64 v[110:111], v[110:111], v[114:115]
	v_add_f64 v[124:125], v[122:123], v[124:125]
	;; [unrolled: 1-line block ×5, first 2 shown]
	s_clause 0x1
	buffer_load_dword v189, off, s[48:51], 0 offset:172
	buffer_load_dword v190, off, s[48:51], 0 offset:176
	v_mul_f64 v[221:222], v[207:208], s[30:31]
	v_add_f64 v[104:105], v[104:105], v[108:109]
	v_fma_f64 v[114:115], v[181:182], s[2:3], v[112:113]
	v_fma_f64 v[112:113], v[181:182], s[2:3], -v[112:113]
	v_mul_f64 v[181:182], v[207:208], s[10:11]
	v_add_f64 v[118:119], v[122:123], v[118:119]
	v_add_f64 v[116:117], v[122:123], v[116:117]
	v_add_f64 v[130:131], v[120:121], v[130:131]
	v_add_f64 v[106:107], v[106:107], v[110:111]
	v_add_f64 v[100:101], v[100:101], v[104:105]
	v_mov_b32_e32 v104, 4
	v_add_f64 v[20:21], v[20:21], -v[181:182]
	v_mul_f64 v[181:182], v[191:192], s[16:17]
	v_add_f64 v[114:115], v[114:115], v[118:119]
	v_add_f64 v[112:113], v[112:113], v[116:117]
	v_mul_f64 v[116:117], v[213:214], s[16:17]
	v_add_f64 v[102:103], v[102:103], v[106:107]
	v_add_f64 v[16:17], v[181:182], v[16:17]
	v_mul_f64 v[181:182], v[195:196], s[40:41]
	v_add_f64 v[2:3], v[2:3], -v[181:182]
	v_mul_f64 v[181:182], v[179:180], s[18:19]
	v_add_f64 v[2:3], v[2:3], v[128:129]
	v_add_f64 v[14:15], v[181:182], v[14:15]
	v_mul_f64 v[181:182], v[207:208], s[38:39]
	v_add_f64 v[14:15], v[14:15], v[126:127]
	v_add_f64 v[4:5], v[4:5], -v[181:182]
	v_mul_f64 v[181:182], v[195:196], s[30:31]
	s_waitcnt vmcnt(6)
	v_add_f64 v[136:137], v[138:139], -v[136:137]
	v_mul_f64 v[138:139], v[175:176], s[30:31]
	v_add_f64 v[14:15], v[16:17], v[14:15]
	v_add_f64 v[2:3], v[4:5], v[2:3]
	v_add_f64 v[98:99], v[98:99], -v[181:182]
	v_mul_f64 v[181:182], v[195:196], s[22:23]
	v_add_f64 v[122:123], v[122:123], v[136:137]
	v_fma_f64 v[140:141], v[173:174], s[34:35], -v[138:139]
	v_fma_f64 v[138:139], v[173:174], s[34:35], v[138:139]
	v_mul_f64 v[136:137], v[207:208], s[24:25]
	v_mul_f64 v[173:174], v[195:196], s[36:37]
	v_add_f64 v[12:13], v[98:99], v[12:13]
	v_add_f64 v[140:141], v[120:121], v[140:141]
	;; [unrolled: 1-line block ×3, first 2 shown]
	v_add_f64 v[18:19], v[18:19], -v[173:174]
	v_mul_f64 v[173:174], v[239:240], s[36:37]
	v_add_f64 v[18:19], v[18:19], v[124:125]
	v_fma_f64 v[175:176], v[229:230], s[18:19], v[173:174]
	v_fma_f64 v[173:174], v[229:230], s[18:19], -v[173:174]
	v_mul_f64 v[124:125], v[217:218], s[36:37]
	s_waitcnt vmcnt(4)
	v_add_f64 v[142:143], v[142:143], v[144:145]
	v_mul_f64 v[144:145], v[227:228], s[42:43]
	v_add_f64 v[18:19], v[20:21], v[18:19]
	v_add_f64 v[120:121], v[120:121], v[142:143]
	v_fma_f64 v[142:143], v[199:200], s[28:29], v[136:137]
	v_fma_f64 v[136:137], v[199:200], s[28:29], -v[136:137]
	v_fma_f64 v[146:147], v[223:224], s[16:17], v[144:145]
	v_fma_f64 v[144:145], v[223:224], s[16:17], -v[144:145]
	v_add_f64 v[114:115], v[142:143], v[114:115]
	v_mul_f64 v[142:143], v[225:226], s[28:29]
	v_add_f64 v[112:113], v[136:137], v[112:113]
	v_mul_f64 v[136:137], v[225:226], s[26:27]
	s_waitcnt vmcnt(2)
	v_add_f64 v[181:182], v[185:186], -v[181:182]
	v_mul_f64 v[185:186], v[195:196], s[10:11]
	s_clause 0x7
	buffer_load_dword v195, off, s[48:51], 0 offset:148
	buffer_load_dword v196, off, s[48:51], 0 offset:152
	buffer_load_dword v199, off, s[48:51], 0 offset:324
	buffer_load_dword v200, off, s[48:51], 0 offset:328
	buffer_load_dword v223, off, s[48:51], 0 offset:316
	buffer_load_dword v224, off, s[48:51], 0 offset:320
	buffer_load_dword v229, off, s[48:51], 0 offset:300
	buffer_load_dword v230, off, s[48:51], 0 offset:304
	v_add_f64 v[20:21], v[146:147], v[114:115]
	v_add_f64 v[136:137], v[136:137], v[243:244]
	;; [unrolled: 1-line block ×3, first 2 shown]
	v_mul_f64 v[132:133], v[213:214], s[28:29]
	s_waitcnt vmcnt(8)
	v_add_f64 v[185:186], v[189:190], -v[185:186]
	v_mul_f64 v[189:190], v[179:180], s[34:35]
	v_add_f64 v[122:123], v[185:186], v[122:123]
	v_add_f64 v[189:190], v[189:190], v[249:250]
	v_mul_f64 v[249:250], v[217:218], s[10:11]
	v_add_f64 v[130:131], v[189:190], v[130:131]
	s_waitcnt vmcnt(6)
	v_add_f64 v[193:194], v[193:194], v[195:196]
	v_mul_f64 v[195:196], v[179:180], s[26:27]
	s_waitcnt vmcnt(2)
	v_add_f64 v[221:222], v[223:224], -v[221:222]
	v_mul_f64 v[223:224], v[191:192], s[34:35]
	v_add_f64 v[120:121], v[193:194], v[120:121]
	v_add_f64 v[195:196], v[195:196], v[199:200]
	v_fma_f64 v[199:200], v[179:180], s[2:3], -v[177:178]
	s_waitcnt vmcnt(0)
	v_add_f64 v[223:224], v[223:224], v[229:230]
	s_clause 0xb
	buffer_load_dword v229, off, s[48:51], 0 offset:212
	buffer_load_dword v230, off, s[48:51], 0 offset:216
	;; [unrolled: 1-line block ×12, first 2 shown]
	v_fma_f64 v[177:178], v[179:180], s[2:3], v[177:178]
	v_mul_f64 v[179:180], v[179:180], s[28:29]
	v_add_f64 v[138:139], v[177:178], v[138:139]
	v_add_f64 v[179:180], v[179:180], v[215:216]
	v_mul_f64 v[215:216], v[207:208], s[44:45]
	v_mul_f64 v[207:208], v[207:208], s[20:21]
	v_add_f64 v[22:23], v[179:180], v[22:23]
	v_add_f64 v[215:216], v[251:252], -v[215:216]
	v_add_f64 v[22:23], v[203:204], v[22:23]
	v_add_f64 v[4:5], v[215:216], v[12:13]
	;; [unrolled: 1-line block ×4, first 2 shown]
	v_mul_f64 v[144:145], v[239:240], s[38:39]
	v_mul_f64 v[112:113], v[213:214], s[18:19]
	s_waitcnt vmcnt(10)
	v_add_f64 v[207:208], v[229:230], -v[207:208]
	v_fma_f64 v[229:230], v[191:192], s[28:29], -v[187:188]
	v_fma_f64 v[187:188], v[191:192], s[28:29], v[187:188]
	v_mul_f64 v[191:192], v[191:192], s[18:19]
	v_add_f64 v[126:127], v[187:188], v[138:139]
	s_waitcnt vmcnt(8)
	v_add_f64 v[191:192], v[191:192], v[233:234]
	v_mul_f64 v[233:234], v[227:228], s[46:47]
	v_mul_f64 v[138:139], v[239:240], s[42:43]
	v_add_f64 v[120:121], v[191:192], v[120:121]
	v_add_f64 v[10:11], v[10:11], -v[233:234]
	v_mul_f64 v[233:234], v[201:202], s[34:35]
	v_add_f64 v[10:11], v[10:11], v[18:19]
	v_add_f64 v[8:9], v[233:234], v[8:9]
	v_mul_f64 v[233:234], v[227:228], s[20:21]
	v_add_f64 v[18:19], v[150:151], v[20:21]
	v_add_f64 v[20:21], v[148:149], v[98:99]
	v_mul_f64 v[148:149], v[239:240], s[30:31]
	v_mul_f64 v[98:99], v[217:218], s[24:25]
	v_add_f64 v[8:9], v[8:9], v[14:15]
	v_add_f64 v[211:212], v[211:212], -v[233:234]
	v_mul_f64 v[233:234], v[201:202], s[18:19]
	v_add_f64 v[2:3], v[211:212], v[2:3]
	v_add_f64 v[205:206], v[233:234], v[205:206]
	v_mul_f64 v[233:234], v[227:228], s[38:39]
	v_add_f64 v[22:23], v[205:206], v[22:23]
	s_waitcnt vmcnt(6)
	v_add_f64 v[233:234], v[235:236], -v[233:234]
	v_mul_f64 v[235:236], v[201:202], s[2:3]
	v_add_f64 v[4:5], v[233:234], v[4:5]
	s_waitcnt vmcnt(4)
	v_add_f64 v[235:236], v[235:236], v[237:238]
	v_mul_f64 v[237:238], v[227:228], s[40:41]
	v_mul_f64 v[227:228], v[227:228], s[22:23]
	s_waitcnt vmcnt(2)
	v_add_f64 v[237:238], v[241:242], -v[237:238]
	v_mul_f64 v[241:242], v[201:202], s[28:29]
	v_add_f64 v[12:13], v[237:238], v[12:13]
	s_waitcnt vmcnt(0)
	v_add_f64 v[241:242], v[241:242], v[245:246]
	s_clause 0xb
	buffer_load_dword v245, off, s[48:51], 0 offset:228
	buffer_load_dword v246, off, s[48:51], 0 offset:232
	;; [unrolled: 1-line block ×12, first 2 shown]
	s_waitcnt vmcnt(10)
	v_add_f64 v[227:228], v[245:246], -v[227:228]
	v_fma_f64 v[245:246], v[201:202], s[16:17], -v[197:198]
	v_fma_f64 v[197:198], v[201:202], s[16:17], v[197:198]
	s_waitcnt vmcnt(4)
	v_add_f64 v[116:117], v[116:117], v[118:119]
	v_add_f64 v[118:119], v[199:200], v[140:141]
	s_waitcnt vmcnt(2)
	v_add_f64 v[124:125], v[128:129], -v[124:125]
	v_add_f64 v[128:129], v[195:196], v[134:135]
	v_mul_f64 v[201:202], v[201:202], s[26:27]
	v_mul_f64 v[140:141], v[239:240], s[24:25]
	s_waitcnt vmcnt(0)
	v_add_f64 v[112:113], v[112:113], v[114:115]
	v_add_f64 v[114:115], v[207:208], v[122:123]
	v_add_f64 v[249:250], v[251:252], -v[249:250]
	v_add_f64 v[118:119], v[229:230], v[118:119]
	v_add_f64 v[12:13], v[124:125], v[12:13]
	;; [unrolled: 1-line block ×4, first 2 shown]
	v_mul_f64 v[247:248], v[217:218], s[38:39]
	v_add_f64 v[128:129], v[219:220], v[130:131]
	v_add_f64 v[114:115], v[227:228], v[114:115]
	;; [unrolled: 1-line block ×5, first 2 shown]
	s_clause 0x7
	buffer_load_dword v126, off, s[48:51], 0 offset:188
	buffer_load_dword v127, off, s[48:51], 0 offset:192
	;; [unrolled: 1-line block ×8, first 2 shown]
	v_add_f64 v[6:7], v[6:7], -v[247:248]
	v_mul_f64 v[247:248], v[213:214], s[2:3]
	v_add_f64 v[120:121], v[201:202], v[120:121]
	v_add_f64 v[122:123], v[241:242], v[122:123]
	;; [unrolled: 1-line block ×4, first 2 shown]
	v_mul_f64 v[6:7], v[231:232], s[36:37]
	v_add_f64 v[0:1], v[247:248], v[0:1]
	v_mul_f64 v[247:248], v[217:218], s[46:47]
	v_add_f64 v[110:111], v[112:113], v[122:123]
	v_add_f64 v[112:113], v[116:117], v[128:129]
	v_fma_f64 v[177:178], v[225:226], s[18:19], v[6:7]
	v_add_f64 v[0:1], v[0:1], v[8:9]
	v_add_f64 v[96:97], v[96:97], -v[247:248]
	v_mul_f64 v[247:248], v[213:214], s[34:35]
	v_add_f64 v[8:9], v[136:137], v[0:1]
	v_add_f64 v[96:97], v[96:97], v[2:3]
	v_mul_f64 v[2:3], v[225:226], s[34:35]
	v_add_f64 v[247:248], v[247:248], v[253:254]
	v_add_f64 v[116:117], v[247:248], v[22:23]
	s_waitcnt vmcnt(6)
	v_add_f64 v[98:99], v[126:127], -v[98:99]
	s_waitcnt vmcnt(4)
	v_add_f64 v[132:133], v[132:133], v[134:135]
	v_mul_f64 v[134:135], v[239:240], s[22:23]
	s_waitcnt vmcnt(2)
	v_add_f64 v[138:139], v[146:147], -v[138:139]
	v_mul_f64 v[146:147], v[225:226], s[2:3]
	v_mul_f64 v[126:127], v[209:210], s[22:23]
	v_add_f64 v[98:99], v[98:99], v[114:115]
	v_add_f64 v[108:109], v[132:133], v[120:121]
	v_add_f64 v[14:15], v[183:184], -v[134:135]
	v_mul_f64 v[134:135], v[225:226], s[16:17]
	v_fma_f64 v[130:131], v[213:214], s[26:27], -v[126:127]
	v_fma_f64 v[126:127], v[213:214], s[26:27], v[126:127]
	v_add_f64 v[10:11], v[14:15], v[10:11]
	s_waitcnt vmcnt(0)
	v_add_f64 v[134:135], v[134:135], v[150:151]
	s_clause 0x1
	buffer_load_dword v150, off, s[48:51], 0 offset:268
	buffer_load_dword v151, off, s[48:51], 0 offset:272
	v_add_f64 v[120:121], v[130:131], v[16:17]
	v_add_f64 v[118:119], v[126:127], v[118:119]
	v_add_f64 v[14:15], v[138:139], v[96:97]
	s_waitcnt vmcnt(0)
	v_add_f64 v[140:141], v[150:151], -v[140:141]
	v_fma_f64 v[150:151], v[225:226], s[18:19], -v[6:7]
	s_clause 0x1
	buffer_load_dword v6, off, s[48:51], 0 offset:260
	buffer_load_dword v7, off, s[48:51], 0 offset:264
	v_add_f64 v[0:1], v[150:151], v[120:121]
	s_waitcnt vmcnt(0)
	v_add_f64 v[142:143], v[142:143], v[6:7]
	s_clause 0x1
	buffer_load_dword v6, off, s[48:51], 0 offset:244
	buffer_load_dword v7, off, s[48:51], 0 offset:248
	v_add_f64 v[16:17], v[142:143], v[112:113]
	s_waitcnt vmcnt(0)
	v_add_f64 v[144:145], v[6:7], -v[144:145]
	s_clause 0x1
	buffer_load_dword v6, off, s[48:51], 0 offset:236
	buffer_load_dword v7, off, s[48:51], 0 offset:240
	v_add_f64 v[22:23], v[144:145], v[12:13]
	v_add_f64 v[12:13], v[134:135], v[116:117]
	s_waitcnt vmcnt(0)
	v_add_f64 v[124:125], v[146:147], v[6:7]
	s_clause 0x1
	buffer_load_dword v6, off, s[48:51], 0 offset:220
	buffer_load_dword v7, off, s[48:51], 0 offset:224
	s_waitcnt vmcnt(0)
	v_add_f64 v[146:147], v[6:7], -v[148:149]
	s_clause 0x2
	buffer_load_dword v6, off, s[48:51], 0 offset:204
	buffer_load_dword v7, off, s[48:51], 0 offset:208
	;; [unrolled: 1-line block ×3, first 2 shown]
	v_add_f64 v[98:99], v[146:147], v[98:99]
	s_waitcnt vmcnt(1)
	v_add_f64 v[114:115], v[2:3], v[6:7]
	v_add_f64 v[6:7], v[173:174], v[20:21]
	;; [unrolled: 1-line block ×6, first 2 shown]
	s_waitcnt vmcnt(0)
	v_lshlrev_b32_sdwa v104, v104, v105 dst_sel:DWORD dst_unused:UNUSED_PAD src0_sel:DWORD src1_sel:WORD_0
	v_add_f64 v[96:97], v[114:115], v[108:109]
	ds_write_b128 v104, v[100:103]
	ds_write_b128 v104, v[96:99] offset:16
	ds_write_b128 v104, v[20:23] offset:32
	;; [unrolled: 1-line block ×12, first 2 shown]
.LBB0_17:
	s_or_b32 exec_lo, exec_lo, s1
	s_waitcnt lgkmcnt(0)
	s_barrier
	buffer_gl0_inv
	ds_read_b128 v[0:3], v255 offset:5824
	ds_read_b128 v[4:7], v255 offset:11648
	;; [unrolled: 1-line block ×6, first 2 shown]
	ds_read_b128 v[96:99], v255
	ds_read_b128 v[100:103], v255 offset:2912
	s_waitcnt lgkmcnt(0)
	s_barrier
	buffer_gl0_inv
	v_mul_f64 v[104:105], v[30:31], v[2:3]
	v_mul_f64 v[30:31], v[30:31], v[0:1]
	;; [unrolled: 1-line block ×12, first 2 shown]
	v_fma_f64 v[0:1], v[28:29], v[0:1], v[104:105]
	v_fma_f64 v[2:3], v[28:29], v[2:3], -v[30:31]
	v_fma_f64 v[4:5], v[32:33], v[4:5], v[106:107]
	v_fma_f64 v[6:7], v[32:33], v[6:7], -v[34:35]
	;; [unrolled: 2-line block ×6, first 2 shown]
	v_add_f64 v[28:29], v[96:97], -v[4:5]
	v_add_f64 v[30:31], v[98:99], -v[6:7]
	;; [unrolled: 1-line block ×8, first 2 shown]
	v_fma_f64 v[22:23], v[96:97], 2.0, -v[28:29]
	v_fma_f64 v[32:33], v[98:99], 2.0, -v[30:31]
	;; [unrolled: 1-line block ×4, first 2 shown]
	v_add_f64 v[0:1], v[28:29], v[6:7]
	v_add_f64 v[2:3], v[30:31], -v[4:5]
	v_fma_f64 v[12:13], v[12:13], 2.0, -v[20:21]
	v_fma_f64 v[14:15], v[14:15], 2.0, -v[8:9]
	;; [unrolled: 1-line block ×4, first 2 shown]
	v_add_f64 v[24:25], v[16:17], v[8:9]
	v_add_f64 v[4:5], v[22:23], -v[10:11]
	v_add_f64 v[6:7], v[32:33], -v[26:27]
	v_add_f64 v[26:27], v[18:19], -v[20:21]
	v_add_f64 v[8:9], v[34:35], -v[12:13]
	v_add_f64 v[10:11], v[36:37], -v[14:15]
	v_fma_f64 v[12:13], v[28:29], 2.0, -v[0:1]
	v_fma_f64 v[14:15], v[30:31], 2.0, -v[2:3]
	;; [unrolled: 1-line block ×5, first 2 shown]
	buffer_load_dword v32, off, s[48:51], 0 offset:40 ; 4-byte Folded Reload
	v_fma_f64 v[18:19], v[18:19], 2.0, -v[26:27]
	s_waitcnt vmcnt(0)
	ds_write_b128 v32, v[0:3] offset:624
	ds_write_b128 v32, v[12:15] offset:208
	ds_write_b128 v32, v[4:7] offset:416
	ds_write_b128 v32, v[20:23]
	buffer_load_dword v0, off, s[48:51], 0 offset:36 ; 4-byte Folded Reload
	v_fma_f64 v[28:29], v[34:35], 2.0, -v[8:9]
	v_fma_f64 v[30:31], v[36:37], 2.0, -v[10:11]
	s_waitcnt vmcnt(0)
	ds_write_b128 v0, v[28:31]
	ds_write_b128 v0, v[16:19] offset:208
	ds_write_b128 v0, v[8:11] offset:416
	;; [unrolled: 1-line block ×3, first 2 shown]
	s_waitcnt lgkmcnt(0)
	s_barrier
	buffer_gl0_inv
	ds_read_b128 v[28:31], v255
	ds_read_b128 v[100:103], v255 offset:3328
	ds_read_b128 v[44:47], v255 offset:6656
	ds_read_b128 v[36:39], v255 offset:9984
	ds_read_b128 v[32:35], v255 offset:13312
	ds_read_b128 v[40:43], v255 offset:16640
	ds_read_b128 v[104:107], v255 offset:19968
	s_and_saveexec_b32 s1, s0
	s_cbranch_execz .LBB0_19
; %bb.18:
	ds_read_b128 v[24:27], v255 offset:2912
	ds_read_b128 v[168:171], v255 offset:6240
	;; [unrolled: 1-line block ×7, first 2 shown]
	s_waitcnt lgkmcnt(0)
	buffer_store_dword v0, off, s[48:51], 0 offset:12 ; 4-byte Folded Spill
	buffer_store_dword v1, off, s[48:51], 0 offset:16 ; 4-byte Folded Spill
	;; [unrolled: 1-line block ×4, first 2 shown]
.LBB0_19:
	s_or_b32 exec_lo, exec_lo, s1
	s_waitcnt lgkmcnt(5)
	v_mul_f64 v[0:1], v[66:67], v[102:103]
	v_mul_f64 v[2:3], v[66:67], v[100:101]
	s_waitcnt lgkmcnt(4)
	v_mul_f64 v[4:5], v[58:59], v[46:47]
	v_mul_f64 v[6:7], v[58:59], v[44:45]
	;; [unrolled: 3-line block ×3, first 2 shown]
	v_mul_f64 v[12:13], v[70:71], v[42:43]
	v_mul_f64 v[14:15], v[70:71], v[40:41]
	;; [unrolled: 1-line block ×6, first 2 shown]
	s_mov_b32 s10, 0x37e14327
	s_mov_b32 s18, 0xe976ee23
	;; [unrolled: 1-line block ×10, first 2 shown]
	v_fma_f64 v[0:1], v[64:65], v[100:101], v[0:1]
	v_fma_f64 v[2:3], v[64:65], v[102:103], -v[2:3]
	v_fma_f64 v[4:5], v[56:57], v[44:45], v[4:5]
	v_fma_f64 v[6:7], v[56:57], v[46:47], -v[6:7]
	;; [unrolled: 2-line block ×6, first 2 shown]
	s_mov_b32 s17, 0xbff2aaaa
	s_mov_b32 s20, 0x5476071b
	s_mov_b32 s25, 0xbfd5d0dc
	s_mov_b32 s21, 0x3fe77f67
	s_mov_b32 s23, 0xbfe77f67
	s_mov_b32 s27, 0x3fd5d0dc
	s_mov_b32 s22, s20
	s_mov_b32 s26, s24
	s_mov_b32 s28, 0x37c3f68c
	s_mov_b32 s29, 0xbfdc38aa
	s_waitcnt_vscnt null, 0x0
	s_barrier
	buffer_gl0_inv
	v_add_f64 v[32:33], v[0:1], v[8:9]
	v_add_f64 v[34:35], v[2:3], v[10:11]
	;; [unrolled: 1-line block ×4, first 2 shown]
	v_add_f64 v[4:5], v[4:5], -v[12:13]
	v_add_f64 v[6:7], v[6:7], -v[14:15]
	v_add_f64 v[12:13], v[16:17], v[20:21]
	v_add_f64 v[14:15], v[18:19], v[22:23]
	v_add_f64 v[16:17], v[20:21], -v[16:17]
	v_add_f64 v[18:19], v[22:23], -v[18:19]
	;; [unrolled: 1-line block ×4, first 2 shown]
	v_add_f64 v[0:1], v[36:37], v[32:33]
	v_add_f64 v[2:3], v[38:39], v[34:35]
	v_add_f64 v[20:21], v[32:33], -v[12:13]
	v_add_f64 v[22:23], v[34:35], -v[14:15]
	;; [unrolled: 1-line block ×6, first 2 shown]
	v_add_f64 v[4:5], v[16:17], v[4:5]
	v_add_f64 v[6:7], v[18:19], v[6:7]
	v_add_f64 v[16:17], v[8:9], -v[16:17]
	v_add_f64 v[18:19], v[10:11], -v[18:19]
	v_add_f64 v[48:49], v[12:13], v[0:1]
	v_add_f64 v[50:51], v[14:15], v[2:3]
	v_add_f64 v[12:13], v[12:13], -v[36:37]
	v_add_f64 v[14:15], v[14:15], -v[38:39]
	v_mul_f64 v[20:21], v[20:21], s[10:11]
	v_mul_f64 v[22:23], v[22:23], s[10:11]
	;; [unrolled: 1-line block ×6, first 2 shown]
	v_add_f64 v[4:5], v[4:5], v[8:9]
	v_add_f64 v[6:7], v[6:7], v[10:11]
	;; [unrolled: 1-line block ×4, first 2 shown]
	v_add_f64 v[28:29], v[36:37], -v[32:33]
	v_add_f64 v[30:31], v[38:39], -v[34:35]
	v_mul_f64 v[32:33], v[12:13], s[8:9]
	v_mul_f64 v[34:35], v[14:15], s[8:9]
	v_fma_f64 v[8:9], v[12:13], s[8:9], v[20:21]
	v_fma_f64 v[10:11], v[14:15], s[8:9], v[22:23]
	v_fma_f64 v[12:13], v[16:17], s[24:25], v[40:41]
	v_fma_f64 v[14:15], v[18:19], s[24:25], v[42:43]
	v_fma_f64 v[36:37], v[44:45], s[2:3], -v[40:41]
	v_fma_f64 v[38:39], v[46:47], s[2:3], -v[42:43]
	;; [unrolled: 1-line block ×4, first 2 shown]
	v_fma_f64 v[40:41], v[48:49], s[16:17], v[0:1]
	v_fma_f64 v[42:43], v[50:51], s[16:17], v[2:3]
	v_fma_f64 v[20:21], v[28:29], s[22:23], -v[20:21]
	v_fma_f64 v[22:23], v[30:31], s[22:23], -v[22:23]
	;; [unrolled: 1-line block ×4, first 2 shown]
	v_fma_f64 v[32:33], v[4:5], s[28:29], v[12:13]
	v_fma_f64 v[34:35], v[6:7], s[28:29], v[14:15]
	v_fma_f64 v[36:37], v[4:5], s[28:29], v[36:37]
	v_fma_f64 v[38:39], v[6:7], s[28:29], v[38:39]
	v_fma_f64 v[44:45], v[4:5], s[28:29], v[16:17]
	v_fma_f64 v[46:47], v[6:7], s[28:29], v[18:19]
	v_add_f64 v[48:49], v[8:9], v[40:41]
	v_add_f64 v[50:51], v[10:11], v[42:43]
	;; [unrolled: 1-line block ×7, first 2 shown]
	v_add_f64 v[6:7], v[50:51], -v[32:33]
	v_add_f64 v[8:9], v[46:47], v[20:21]
	v_add_f64 v[10:11], v[22:23], -v[44:45]
	v_add_f64 v[12:13], v[16:17], -v[38:39]
	v_add_f64 v[14:15], v[36:37], v[18:19]
	v_add_f64 v[16:17], v[38:39], v[16:17]
	v_add_f64 v[18:19], v[18:19], -v[36:37]
	v_add_f64 v[20:21], v[20:21], -v[46:47]
	v_add_f64 v[22:23], v[44:45], v[22:23]
	v_add_f64 v[28:29], v[48:49], -v[34:35]
	v_add_f64 v[30:31], v[32:33], v[50:51]
	ds_write_b128 v172, v[0:3]
	ds_write_b128 v172, v[4:7] offset:832
	ds_write_b128 v172, v[8:11] offset:1664
	;; [unrolled: 1-line block ×6, first 2 shown]
	s_and_saveexec_b32 s1, s0
	s_cbranch_execz .LBB0_21
; %bb.20:
	s_clause 0x13
	buffer_load_dword v42, off, s[48:51], 0 offset:108
	buffer_load_dword v43, off, s[48:51], 0 offset:112
	;; [unrolled: 1-line block ×20, first 2 shown]
	s_waitcnt vmcnt(14)
	v_mul_f64 v[0:1], v[44:45], v[50:51]
	s_waitcnt vmcnt(8)
	v_mul_f64 v[2:3], v[38:39], v[168:169]
	v_mul_f64 v[8:9], v[38:39], v[170:171]
	s_clause 0x7
	buffer_load_dword v38, off, s[48:51], 0 offset:92
	buffer_load_dword v39, off, s[48:51], 0 offset:96
	;; [unrolled: 1-line block ×8, first 2 shown]
	s_waitcnt vmcnt(12)
	v_mul_f64 v[4:5], v[48:49], v[152:153]
	s_waitcnt vmcnt(8)
	v_mul_f64 v[6:7], v[34:35], v[164:165]
	v_mul_f64 v[10:11], v[44:45], v[52:53]
	;; [unrolled: 1-line block ×4, first 2 shown]
	v_fma_f64 v[0:1], v[42:43], v[52:53], -v[0:1]
	v_fma_f64 v[2:3], v[36:37], v[170:171], -v[2:3]
	v_fma_f64 v[8:9], v[36:37], v[168:169], v[8:9]
	v_fma_f64 v[4:5], v[46:47], v[154:155], -v[4:5]
	v_fma_f64 v[6:7], v[32:33], v[166:167], -v[6:7]
	v_fma_f64 v[10:11], v[42:43], v[50:51], v[10:11]
	v_fma_f64 v[12:13], v[32:33], v[164:165], v[12:13]
	;; [unrolled: 1-line block ×3, first 2 shown]
	v_add_f64 v[32:33], v[8:9], v[10:11]
	v_add_f64 v[8:9], v[8:9], -v[10:11]
	v_add_f64 v[34:35], v[12:13], v[14:15]
	v_add_f64 v[12:13], v[12:13], -v[14:15]
	s_waitcnt vmcnt(4)
	v_mul_f64 v[16:17], v[40:41], v[158:159]
	s_waitcnt vmcnt(0)
	v_mul_f64 v[18:19], v[30:31], v[162:163]
	v_mul_f64 v[20:21], v[30:31], v[160:161]
	v_mul_f64 v[22:23], v[40:41], v[156:157]
	v_add_f64 v[30:31], v[6:7], v[4:5]
	v_add_f64 v[4:5], v[6:7], -v[4:5]
	v_add_f64 v[6:7], v[2:3], -v[0:1]
	v_fma_f64 v[16:17], v[38:39], v[156:157], v[16:17]
	v_fma_f64 v[18:19], v[28:29], v[160:161], v[18:19]
	v_fma_f64 v[20:21], v[28:29], v[162:163], -v[20:21]
	v_fma_f64 v[22:23], v[38:39], v[158:159], -v[22:23]
	v_add_f64 v[28:29], v[2:3], v[0:1]
	v_add_f64 v[0:1], v[34:35], v[32:33]
	v_add_f64 v[38:39], v[12:13], -v[8:9]
	v_add_f64 v[42:43], v[4:5], -v[6:7]
	v_add_f64 v[36:37], v[16:17], -v[18:19]
	v_add_f64 v[16:17], v[18:19], v[16:17]
	v_add_f64 v[14:15], v[20:21], v[22:23]
	;; [unrolled: 1-line block ×3, first 2 shown]
	v_add_f64 v[18:19], v[22:23], -v[20:21]
	v_mul_f64 v[48:49], v[38:39], s[2:3]
	v_add_f64 v[2:3], v[36:37], -v[12:13]
	v_add_f64 v[22:23], v[32:33], -v[16:17]
	;; [unrolled: 1-line block ×3, first 2 shown]
	v_add_f64 v[10:11], v[14:15], v[10:11]
	v_add_f64 v[14:15], v[14:15], -v[30:31]
	v_add_f64 v[40:41], v[18:19], -v[4:5]
	v_add_f64 v[44:45], v[16:17], v[0:1]
	v_add_f64 v[16:17], v[16:17], -v[34:35]
	v_add_f64 v[46:47], v[8:9], -v[36:37]
	v_add_f64 v[12:13], v[36:37], v[12:13]
	v_add_f64 v[4:5], v[18:19], v[4:5]
	v_add_f64 v[18:19], v[6:7], -v[18:19]
	v_mul_f64 v[36:37], v[2:3], s[18:19]
	v_mul_f64 v[22:23], v[22:23], s[10:11]
	;; [unrolled: 1-line block ×3, first 2 shown]
	v_add_f64 v[2:3], v[26:27], v[10:11]
	v_add_f64 v[26:27], v[30:31], -v[28:29]
	v_mul_f64 v[28:29], v[14:15], s[8:9]
	v_mul_f64 v[30:31], v[40:41], s[18:19]
	;; [unrolled: 1-line block ×3, first 2 shown]
	v_add_f64 v[0:1], v[24:25], v[44:45]
	v_add_f64 v[24:25], v[34:35], -v[32:33]
	v_mul_f64 v[32:33], v[16:17], s[8:9]
	v_add_f64 v[8:9], v[12:13], v[8:9]
	v_add_f64 v[4:5], v[4:5], v[6:7]
	v_fma_f64 v[6:7], v[46:47], s[24:25], v[36:37]
	v_fma_f64 v[34:35], v[38:39], s[2:3], -v[36:37]
	v_fma_f64 v[12:13], v[14:15], s[8:9], v[20:21]
	v_fma_f64 v[14:15], v[16:17], s[8:9], v[22:23]
	v_fma_f64 v[16:17], v[46:47], s[26:27], -v[48:49]
	v_fma_f64 v[10:11], v[10:11], s[16:17], v[2:3]
	v_fma_f64 v[20:21], v[26:27], s[22:23], -v[20:21]
	v_fma_f64 v[26:27], v[26:27], s[20:21], -v[28:29]
	v_fma_f64 v[28:29], v[18:19], s[24:25], v[30:31]
	v_fma_f64 v[18:19], v[18:19], s[26:27], -v[40:41]
	;; [unrolled: 3-line block ×3, first 2 shown]
	v_fma_f64 v[24:25], v[24:25], s[20:21], -v[32:33]
	v_fma_f64 v[32:33], v[8:9], s[28:29], v[6:7]
	v_fma_f64 v[16:17], v[8:9], s[28:29], v[16:17]
	;; [unrolled: 1-line block ×3, first 2 shown]
	v_add_f64 v[12:13], v[12:13], v[10:11]
	v_add_f64 v[20:21], v[20:21], v[10:11]
	;; [unrolled: 1-line block ×3, first 2 shown]
	v_fma_f64 v[28:29], v[4:5], s[28:29], v[28:29]
	v_fma_f64 v[34:35], v[4:5], s[28:29], v[18:19]
	;; [unrolled: 1-line block ×3, first 2 shown]
	v_add_f64 v[30:31], v[14:15], v[36:37]
	v_add_f64 v[38:39], v[22:23], v[36:37]
	v_add_f64 v[36:37], v[24:25], v[36:37]
	v_add_f64 v[6:7], v[32:33], v[12:13]
	v_add_f64 v[10:11], v[16:17], v[20:21]
	v_add_f64 v[14:15], v[26:27], -v[8:9]
	v_add_f64 v[18:19], v[8:9], v[26:27]
	v_add_f64 v[22:23], v[20:21], -v[16:17]
	v_add_f64 v[26:27], v[12:13], -v[32:33]
	v_add_f64 v[24:25], v[28:29], v[30:31]
	v_add_f64 v[20:21], v[34:35], v[38:39]
	v_add_f64 v[16:17], v[36:37], -v[4:5]
	v_add_f64 v[12:13], v[4:5], v[36:37]
	v_add_f64 v[4:5], v[30:31], -v[28:29]
	buffer_load_dword v29, off, s[48:51], 0 offset:32 ; 4-byte Folded Reload
	v_add_f64 v[8:9], v[38:39], -v[34:35]
	v_mov_b32_e32 v28, 4
	s_waitcnt vmcnt(0)
	v_lshlrev_b32_sdwa v28, v28, v29 dst_sel:DWORD dst_unused:UNUSED_PAD src0_sel:DWORD src1_sel:WORD_0
	ds_write_b128 v28, v[0:3] offset:17472
	ds_write_b128 v28, v[24:27] offset:18304
	;; [unrolled: 1-line block ×7, first 2 shown]
.LBB0_21:
	s_or_b32 exec_lo, exec_lo, s1
	s_waitcnt lgkmcnt(0)
	s_barrier
	buffer_gl0_inv
	ds_read_b128 v[0:3], v255 offset:11648
	ds_read_b128 v[4:7], v255 offset:14560
	;; [unrolled: 1-line block ×4, first 2 shown]
	ds_read_b128 v[16:19], v255
	ds_read_b128 v[20:23], v255 offset:2912
	s_waitcnt lgkmcnt(5)
	v_mul_f64 v[24:25], v[74:75], v[2:3]
	v_mul_f64 v[26:27], v[74:75], v[0:1]
	s_waitcnt lgkmcnt(4)
	v_mul_f64 v[28:29], v[78:79], v[6:7]
	v_mul_f64 v[30:31], v[78:79], v[4:5]
	s_waitcnt lgkmcnt(3)
	v_mul_f64 v[32:33], v[74:75], v[10:11]
	v_mul_f64 v[34:35], v[74:75], v[8:9]
	s_waitcnt lgkmcnt(2)
	v_mul_f64 v[36:37], v[78:79], v[14:15]
	v_mul_f64 v[38:39], v[78:79], v[12:13]
	v_fma_f64 v[24:25], v[72:73], v[0:1], v[24:25]
	v_fma_f64 v[26:27], v[72:73], v[2:3], -v[26:27]
	v_fma_f64 v[28:29], v[76:77], v[4:5], v[28:29]
	v_fma_f64 v[30:31], v[76:77], v[6:7], -v[30:31]
	;; [unrolled: 2-line block ×4, first 2 shown]
	ds_read_b128 v[0:3], v255 offset:5824
	ds_read_b128 v[4:7], v255 offset:8736
	s_waitcnt lgkmcnt(0)
	s_barrier
	buffer_gl0_inv
	v_add_f64 v[8:9], v[16:17], -v[24:25]
	v_add_f64 v[10:11], v[18:19], -v[26:27]
	v_add_f64 v[12:13], v[20:21], -v[28:29]
	v_add_f64 v[14:15], v[22:23], -v[30:31]
	v_add_f64 v[24:25], v[0:1], -v[32:33]
	v_add_f64 v[26:27], v[2:3], -v[34:35]
	v_add_f64 v[28:29], v[4:5], -v[36:37]
	v_add_f64 v[30:31], v[6:7], -v[38:39]
	v_fma_f64 v[16:17], v[16:17], 2.0, -v[8:9]
	v_fma_f64 v[18:19], v[18:19], 2.0, -v[10:11]
	;; [unrolled: 1-line block ×8, first 2 shown]
	ds_write_b128 v255, v[8:11] offset:5824
	ds_write_b128 v255, v[12:15] offset:8736
	;; [unrolled: 1-line block ×4, first 2 shown]
	ds_write_b128 v255, v[16:19]
	ds_write_b128 v255, v[20:23] offset:2912
	ds_write_b128 v255, v[0:3] offset:11648
	;; [unrolled: 1-line block ×3, first 2 shown]
	s_waitcnt lgkmcnt(0)
	s_barrier
	buffer_gl0_inv
	ds_read_b128 v[0:3], v255 offset:11648
	ds_read_b128 v[4:7], v255 offset:14560
	;; [unrolled: 1-line block ×4, first 2 shown]
	ds_read_b128 v[16:19], v255
	ds_read_b128 v[20:23], v255 offset:2912
	s_waitcnt lgkmcnt(5)
	v_mul_f64 v[24:25], v[82:83], v[2:3]
	v_mul_f64 v[26:27], v[82:83], v[0:1]
	s_waitcnt lgkmcnt(4)
	v_mul_f64 v[28:29], v[94:95], v[6:7]
	v_mul_f64 v[30:31], v[94:95], v[4:5]
	;; [unrolled: 3-line block ×4, first 2 shown]
	v_fma_f64 v[24:25], v[80:81], v[0:1], v[24:25]
	v_fma_f64 v[26:27], v[80:81], v[2:3], -v[26:27]
	v_fma_f64 v[28:29], v[92:93], v[4:5], v[28:29]
	v_fma_f64 v[30:31], v[92:93], v[6:7], -v[30:31]
	;; [unrolled: 2-line block ×4, first 2 shown]
	ds_read_b128 v[0:3], v255 offset:5824
	ds_read_b128 v[4:7], v255 offset:8736
	s_waitcnt lgkmcnt(3)
	v_add_f64 v[8:9], v[16:17], -v[24:25]
	v_add_f64 v[10:11], v[18:19], -v[26:27]
	s_waitcnt lgkmcnt(2)
	v_add_f64 v[12:13], v[20:21], -v[28:29]
	v_add_f64 v[14:15], v[22:23], -v[30:31]
	;; [unrolled: 3-line block ×4, first 2 shown]
	v_fma_f64 v[16:17], v[16:17], 2.0, -v[8:9]
	v_fma_f64 v[18:19], v[18:19], 2.0, -v[10:11]
	;; [unrolled: 1-line block ×8, first 2 shown]
	ds_write_b128 v255, v[8:11] offset:11648
	ds_write_b128 v255, v[12:15] offset:14560
	ds_write_b128 v255, v[24:27] offset:17472
	ds_write_b128 v255, v[28:31] offset:20384
	ds_write_b128 v255, v[16:19]
	ds_write_b128 v255, v[20:23] offset:2912
	ds_write_b128 v255, v[0:3] offset:5824
	;; [unrolled: 1-line block ×3, first 2 shown]
	s_waitcnt lgkmcnt(0)
	s_barrier
	buffer_gl0_inv
	s_and_b32 exec_lo, exec_lo, vcc_lo
	s_cbranch_execz .LBB0_23
; %bb.22:
	v_add_co_u32 v42, s0, s14, v255
	v_add_co_ci_u32_e64 v43, null, s15, 0, s0
	s_mul_i32 s0, s5, 0x700
	v_add_co_u32 v8, vcc_lo, 0x800, v42
	v_add_co_ci_u32_e32 v9, vcc_lo, 0, v43, vcc_lo
	v_add_co_u32 v12, vcc_lo, 0x1000, v42
	v_add_co_ci_u32_e32 v13, vcc_lo, 0, v43, vcc_lo
	s_clause 0x3
	global_load_dwordx4 v[0:3], v255, s[14:15]
	global_load_dwordx4 v[4:7], v255, s[14:15] offset:1792
	global_load_dwordx4 v[8:11], v[8:9], off offset:1536
	global_load_dwordx4 v[12:15], v[12:13], off offset:1280
	buffer_load_dword v58, off, s[48:51], 0 ; 4-byte Folded Reload
	v_add_co_u32 v16, vcc_lo, 0x1800, v42
	v_add_co_ci_u32_e32 v17, vcc_lo, 0, v43, vcc_lo
	v_add_co_u32 v20, vcc_lo, 0x2000, v42
	v_add_co_ci_u32_e32 v21, vcc_lo, 0, v43, vcc_lo
	v_add_co_u32 v28, vcc_lo, 0x2800, v42
	v_add_co_ci_u32_e32 v29, vcc_lo, 0, v43, vcc_lo
	v_add_co_u32 v32, vcc_lo, 0x3000, v42
	v_add_co_ci_u32_e32 v33, vcc_lo, 0, v43, vcc_lo
	v_add_co_u32 v36, vcc_lo, 0x3800, v42
	v_add_co_ci_u32_e32 v37, vcc_lo, 0, v43, vcc_lo
	v_add_co_u32 v40, vcc_lo, 0x4000, v42
	v_add_co_ci_u32_e32 v41, vcc_lo, 0, v43, vcc_lo
	v_add_co_u32 v44, vcc_lo, 0x4800, v42
	v_add_co_ci_u32_e32 v45, vcc_lo, 0, v43, vcc_lo
	v_add_co_u32 v48, vcc_lo, 0x5000, v42
	v_add_co_ci_u32_e32 v49, vcc_lo, 0, v43, vcc_lo
	s_mul_hi_u32 s1, s4, 0x700
	s_mul_i32 s2, s4, 0x700
	s_add_i32 s3, s1, s0
	s_mov_b32 s0, 0x16816817
	s_mov_b32 s1, 0x3f468168
	s_waitcnt vmcnt(0)
	v_or_b32_e32 v69, 0x380, v58
	v_mad_u64_u32 v[54:55], null, s4, v58, 0
	v_lshlrev_b32_e32 v24, 4, v69
	s_clause 0x8
	global_load_dwordx4 v[16:19], v[16:17], off offset:1024
	global_load_dwordx4 v[20:23], v[20:21], off offset:768
	global_load_dwordx4 v[24:27], v24, s[14:15]
	global_load_dwordx4 v[28:31], v[28:29], off offset:512
	global_load_dwordx4 v[32:35], v[32:33], off offset:256
	;; [unrolled: 1-line block ×6, first 2 shown]
	s_clause 0x1
	buffer_load_dword v52, off, s[48:51], 0 offset:4
	buffer_load_dword v53, off, s[48:51], 0 offset:8
	v_mad_u64_u32 v[118:119], null, s4, v69, 0
	v_mov_b32_e32 v68, v119
	v_mad_u64_u32 v[92:93], null, s5, v69, v[68:69]
	v_mov_b32_e32 v119, v92
	v_lshlrev_b64 v[118:119], 4, v[118:119]
	s_waitcnt vmcnt(1)
	v_mov_b32_e32 v56, v52
	s_waitcnt vmcnt(0)
	v_mad_u64_u32 v[52:53], null, s6, v56, 0
	v_mad_u64_u32 v[56:57], null, s7, v56, v[53:54]
	;; [unrolled: 1-line block ×3, first 2 shown]
	v_mov_b32_e32 v53, v56
	v_lshlrev_b64 v[52:53], 4, v[52:53]
	v_mov_b32_e32 v55, v57
	v_lshlrev_b64 v[54:55], 4, v[54:55]
	v_add_co_u32 v152, vcc_lo, s12, v52
	v_add_co_ci_u32_e32 v153, vcc_lo, s13, v53, vcc_lo
	v_add_co_u32 v104, vcc_lo, v152, v54
	v_add_co_ci_u32_e32 v105, vcc_lo, v153, v55, vcc_lo
	ds_read_b128 v[52:55], v255
	ds_read_b128 v[56:59], v255 offset:1792
	ds_read_b128 v[60:63], v255 offset:3584
	;; [unrolled: 1-line block ×3, first 2 shown]
	v_add_co_u32 v106, vcc_lo, v104, s2
	v_add_co_ci_u32_e32 v107, vcc_lo, s3, v105, vcc_lo
	ds_read_b128 v[68:71], v255 offset:7168
	ds_read_b128 v[72:75], v255 offset:8960
	;; [unrolled: 1-line block ×3, first 2 shown]
	v_add_co_u32 v108, vcc_lo, v106, s2
	v_add_co_ci_u32_e32 v109, vcc_lo, s3, v107, vcc_lo
	v_add_co_u32 v110, vcc_lo, v108, s2
	v_add_co_ci_u32_e32 v111, vcc_lo, s3, v109, vcc_lo
	;; [unrolled: 2-line block ×3, first 2 shown]
	s_waitcnt lgkmcnt(6)
	v_mul_f64 v[126:127], v[54:55], v[2:3]
	v_add_co_u32 v114, vcc_lo, v112, s2
	v_add_co_ci_u32_e32 v115, vcc_lo, s3, v113, vcc_lo
	v_mul_f64 v[2:3], v[52:53], v[2:3]
	v_add_co_u32 v116, vcc_lo, v114, s2
	v_add_co_ci_u32_e32 v117, vcc_lo, s3, v115, vcc_lo
	s_waitcnt lgkmcnt(5)
	v_mul_f64 v[128:129], v[58:59], v[6:7]
	v_add_co_u32 v120, vcc_lo, v116, s2
	v_add_co_ci_u32_e32 v121, vcc_lo, s3, v117, vcc_lo
	v_mul_f64 v[6:7], v[56:57], v[6:7]
	s_waitcnt lgkmcnt(0)
	v_mul_f64 v[130:131], v[78:79], v[26:27]
	v_mul_f64 v[26:27], v[76:77], v[26:27]
	v_mad_u64_u32 v[122:123], null, 0xe00, s4, v[120:121]
	v_mul_f64 v[132:133], v[62:63], v[10:11]
	v_mul_f64 v[10:11], v[60:61], v[10:11]
	;; [unrolled: 1-line block ×6, first 2 shown]
	v_mov_b32_e32 v80, v123
	v_mul_f64 v[138:139], v[74:75], v[22:23]
	v_mul_f64 v[22:23], v[72:73], v[22:23]
	v_fma_f64 v[52:53], v[52:53], v[0:1], v[126:127]
	v_fma_f64 v[2:3], v[0:1], v[54:55], -v[2:3]
	v_mad_u64_u32 v[123:124], null, 0xe00, s5, v[80:81]
	ds_read_b128 v[80:83], v255 offset:10752
	ds_read_b128 v[84:87], v255 offset:12544
	;; [unrolled: 1-line block ×6, first 2 shown]
	v_fma_f64 v[54:55], v[56:57], v[4:5], v[128:129]
	v_add_co_u32 v124, vcc_lo, v122, s2
	v_fma_f64 v[6:7], v[4:5], v[58:59], -v[6:7]
	v_fma_f64 v[56:57], v[76:77], v[24:25], v[130:131]
	v_fma_f64 v[24:25], v[24:25], v[78:79], -v[26:27]
	v_add_co_ci_u32_e32 v125, vcc_lo, s3, v123, vcc_lo
	v_fma_f64 v[26:27], v[60:61], v[8:9], v[132:133]
	v_fma_f64 v[58:59], v[8:9], v[62:63], -v[10:11]
	v_fma_f64 v[60:61], v[64:65], v[12:13], v[134:135]
	v_fma_f64 v[62:63], v[12:13], v[66:67], -v[14:15]
	;; [unrolled: 2-line block ×4, first 2 shown]
	s_waitcnt lgkmcnt(5)
	v_mul_f64 v[140:141], v[82:83], v[30:31]
	v_mul_f64 v[30:31], v[80:81], v[30:31]
	s_waitcnt lgkmcnt(4)
	v_mul_f64 v[142:143], v[86:87], v[34:35]
	v_mul_f64 v[34:35], v[84:85], v[34:35]
	;; [unrolled: 3-line block ×6, first 2 shown]
	v_mul_f64 v[0:1], v[52:53], s[0:1]
	v_mul_f64 v[2:3], v[2:3], s[0:1]
	v_mul_f64 v[4:5], v[54:55], s[0:1]
	v_mul_f64 v[6:7], v[6:7], s[0:1]
	v_mul_f64 v[12:13], v[26:27], s[0:1]
	v_mul_f64 v[14:15], v[58:59], s[0:1]
	v_mul_f64 v[16:17], v[60:61], s[0:1]
	v_mul_f64 v[18:19], v[62:63], s[0:1]
	v_mul_f64 v[20:21], v[64:65], s[0:1]
	v_mul_f64 v[22:23], v[66:67], s[0:1]
	v_fma_f64 v[72:73], v[80:81], v[28:29], v[140:141]
	v_fma_f64 v[30:31], v[28:29], v[82:83], -v[30:31]
	v_fma_f64 v[74:75], v[84:85], v[32:33], v[142:143]
	v_fma_f64 v[34:35], v[32:33], v[86:87], -v[34:35]
	;; [unrolled: 2-line block ×6, first 2 shown]
	v_mul_f64 v[10:11], v[24:25], s[0:1]
	v_mul_f64 v[24:25], v[68:69], s[0:1]
	;; [unrolled: 1-line block ×4, first 2 shown]
	v_add_co_u32 v52, vcc_lo, v124, s2
	v_add_co_ci_u32_e32 v53, vcc_lo, s3, v125, vcc_lo
	v_add_co_u32 v54, vcc_lo, v152, v118
	v_mul_f64 v[28:29], v[72:73], s[0:1]
	v_mul_f64 v[30:31], v[30:31], s[0:1]
	;; [unrolled: 1-line block ×12, first 2 shown]
	v_add_co_ci_u32_e32 v55, vcc_lo, v153, v119, vcc_lo
	v_add_co_u32 v56, vcc_lo, v52, s2
	v_add_co_ci_u32_e32 v57, vcc_lo, s3, v53, vcc_lo
	global_store_dwordx4 v[104:105], v[0:3], off
	global_store_dwordx4 v[106:107], v[4:7], off
	;; [unrolled: 1-line block ×13, first 2 shown]
.LBB0_23:
	s_endpgm
	.section	.rodata,"a",@progbits
	.p2align	6, 0x0
	.amdhsa_kernel bluestein_single_back_len1456_dim1_dp_op_CI_CI
		.amdhsa_group_segment_fixed_size 23296
		.amdhsa_private_segment_fixed_size 384
		.amdhsa_kernarg_size 104
		.amdhsa_user_sgpr_count 6
		.amdhsa_user_sgpr_private_segment_buffer 1
		.amdhsa_user_sgpr_dispatch_ptr 0
		.amdhsa_user_sgpr_queue_ptr 0
		.amdhsa_user_sgpr_kernarg_segment_ptr 1
		.amdhsa_user_sgpr_dispatch_id 0
		.amdhsa_user_sgpr_flat_scratch_init 0
		.amdhsa_user_sgpr_private_segment_size 0
		.amdhsa_wavefront_size32 1
		.amdhsa_uses_dynamic_stack 0
		.amdhsa_system_sgpr_private_segment_wavefront_offset 1
		.amdhsa_system_sgpr_workgroup_id_x 1
		.amdhsa_system_sgpr_workgroup_id_y 0
		.amdhsa_system_sgpr_workgroup_id_z 0
		.amdhsa_system_sgpr_workgroup_info 0
		.amdhsa_system_vgpr_workitem_id 0
		.amdhsa_next_free_vgpr 256
		.amdhsa_next_free_sgpr 52
		.amdhsa_reserve_vcc 1
		.amdhsa_reserve_flat_scratch 0
		.amdhsa_float_round_mode_32 0
		.amdhsa_float_round_mode_16_64 0
		.amdhsa_float_denorm_mode_32 3
		.amdhsa_float_denorm_mode_16_64 3
		.amdhsa_dx10_clamp 1
		.amdhsa_ieee_mode 1
		.amdhsa_fp16_overflow 0
		.amdhsa_workgroup_processor_mode 1
		.amdhsa_memory_ordered 1
		.amdhsa_forward_progress 0
		.amdhsa_shared_vgpr_count 0
		.amdhsa_exception_fp_ieee_invalid_op 0
		.amdhsa_exception_fp_denorm_src 0
		.amdhsa_exception_fp_ieee_div_zero 0
		.amdhsa_exception_fp_ieee_overflow 0
		.amdhsa_exception_fp_ieee_underflow 0
		.amdhsa_exception_fp_ieee_inexact 0
		.amdhsa_exception_int_div_zero 0
	.end_amdhsa_kernel
	.text
.Lfunc_end0:
	.size	bluestein_single_back_len1456_dim1_dp_op_CI_CI, .Lfunc_end0-bluestein_single_back_len1456_dim1_dp_op_CI_CI
                                        ; -- End function
	.section	.AMDGPU.csdata,"",@progbits
; Kernel info:
; codeLenInByte = 22544
; NumSgprs: 54
; NumVgprs: 256
; ScratchSize: 384
; MemoryBound: 0
; FloatMode: 240
; IeeeMode: 1
; LDSByteSize: 23296 bytes/workgroup (compile time only)
; SGPRBlocks: 6
; VGPRBlocks: 31
; NumSGPRsForWavesPerEU: 54
; NumVGPRsForWavesPerEU: 256
; Occupancy: 4
; WaveLimiterHint : 1
; COMPUTE_PGM_RSRC2:SCRATCH_EN: 1
; COMPUTE_PGM_RSRC2:USER_SGPR: 6
; COMPUTE_PGM_RSRC2:TRAP_HANDLER: 0
; COMPUTE_PGM_RSRC2:TGID_X_EN: 1
; COMPUTE_PGM_RSRC2:TGID_Y_EN: 0
; COMPUTE_PGM_RSRC2:TGID_Z_EN: 0
; COMPUTE_PGM_RSRC2:TIDIG_COMP_CNT: 0
	.text
	.p2alignl 6, 3214868480
	.fill 48, 4, 3214868480
	.type	__hip_cuid_4af2f62cc9eca3ef,@object ; @__hip_cuid_4af2f62cc9eca3ef
	.section	.bss,"aw",@nobits
	.globl	__hip_cuid_4af2f62cc9eca3ef
__hip_cuid_4af2f62cc9eca3ef:
	.byte	0                               ; 0x0
	.size	__hip_cuid_4af2f62cc9eca3ef, 1

	.ident	"AMD clang version 19.0.0git (https://github.com/RadeonOpenCompute/llvm-project roc-6.4.0 25133 c7fe45cf4b819c5991fe208aaa96edf142730f1d)"
	.section	".note.GNU-stack","",@progbits
	.addrsig
	.addrsig_sym __hip_cuid_4af2f62cc9eca3ef
	.amdgpu_metadata
---
amdhsa.kernels:
  - .args:
      - .actual_access:  read_only
        .address_space:  global
        .offset:         0
        .size:           8
        .value_kind:     global_buffer
      - .actual_access:  read_only
        .address_space:  global
        .offset:         8
        .size:           8
        .value_kind:     global_buffer
      - .actual_access:  read_only
        .address_space:  global
        .offset:         16
        .size:           8
        .value_kind:     global_buffer
      - .actual_access:  read_only
        .address_space:  global
        .offset:         24
        .size:           8
        .value_kind:     global_buffer
      - .actual_access:  read_only
        .address_space:  global
        .offset:         32
        .size:           8
        .value_kind:     global_buffer
      - .offset:         40
        .size:           8
        .value_kind:     by_value
      - .address_space:  global
        .offset:         48
        .size:           8
        .value_kind:     global_buffer
      - .address_space:  global
        .offset:         56
        .size:           8
        .value_kind:     global_buffer
      - .address_space:  global
        .offset:         64
        .size:           8
        .value_kind:     global_buffer
      - .address_space:  global
        .offset:         72
        .size:           8
        .value_kind:     global_buffer
      - .offset:         80
        .size:           4
        .value_kind:     by_value
      - .address_space:  global
        .offset:         88
        .size:           8
        .value_kind:     global_buffer
      - .address_space:  global
        .offset:         96
        .size:           8
        .value_kind:     global_buffer
    .group_segment_fixed_size: 23296
    .kernarg_segment_align: 8
    .kernarg_segment_size: 104
    .language:       OpenCL C
    .language_version:
      - 2
      - 0
    .max_flat_workgroup_size: 182
    .name:           bluestein_single_back_len1456_dim1_dp_op_CI_CI
    .private_segment_fixed_size: 384
    .sgpr_count:     54
    .sgpr_spill_count: 0
    .symbol:         bluestein_single_back_len1456_dim1_dp_op_CI_CI.kd
    .uniform_work_group_size: 1
    .uses_dynamic_stack: false
    .vgpr_count:     256
    .vgpr_spill_count: 101
    .wavefront_size: 32
    .workgroup_processor_mode: 1
amdhsa.target:   amdgcn-amd-amdhsa--gfx1030
amdhsa.version:
  - 1
  - 2
...

	.end_amdgpu_metadata
